;; amdgpu-corpus repo=ROCm/rocFFT kind=compiled arch=gfx906 opt=O3
	.text
	.amdgcn_target "amdgcn-amd-amdhsa--gfx906"
	.amdhsa_code_object_version 6
	.protected	bluestein_single_back_len1700_dim1_dp_op_CI_CI ; -- Begin function bluestein_single_back_len1700_dim1_dp_op_CI_CI
	.globl	bluestein_single_back_len1700_dim1_dp_op_CI_CI
	.p2align	8
	.type	bluestein_single_back_len1700_dim1_dp_op_CI_CI,@function
bluestein_single_back_len1700_dim1_dp_op_CI_CI: ; @bluestein_single_back_len1700_dim1_dp_op_CI_CI
; %bb.0:
	s_mov_b64 s[66:67], s[2:3]
	s_mov_b64 s[64:65], s[0:1]
	v_mul_u32_u24_e32 v1, 0x182, v0
	s_add_u32 s64, s64, s7
	v_add_u32_sdwa v3, s6, v1 dst_sel:DWORD dst_unused:UNUSED_PAD src0_sel:DWORD src1_sel:WORD_1
	s_addc_u32 s65, s65, 0
	v_mov_b32_e32 v2, v3
	buffer_store_dword v2, off, s[64:67], 0 ; 4-byte Folded Spill
	s_nop 0
	buffer_store_dword v3, off, s[64:67], 0 offset:4 ; 4-byte Folded Spill
	s_load_dwordx4 s[0:3], s[4:5], 0x28
	v_mov_b32_e32 v4, 0
	s_waitcnt lgkmcnt(0)
	v_cmp_gt_u64_e32 vcc, s[0:1], v[3:4]
	s_and_saveexec_b64 s[0:1], vcc
	s_cbranch_execz .LBB0_15
; %bb.1:
	s_load_dwordx2 s[12:13], s[4:5], 0x0
	s_load_dwordx2 s[14:15], s[4:5], 0x38
	s_movk_i32 s0, 0xaa
	v_mul_lo_u16_sdwa v1, v1, s0 dst_sel:DWORD dst_unused:UNUSED_PAD src0_sel:WORD_1 src1_sel:DWORD
	v_sub_u16_e32 v178, v0, v1
	s_movk_i32 s0, 0x64
	v_cmp_gt_u16_e64 s[0:1], s0, v178
	v_lshlrev_b32_e32 v255, 4, v178
	s_and_saveexec_b64 s[6:7], s[0:1]
	s_cbranch_execz .LBB0_3
; %bb.2:
	s_load_dwordx2 s[8:9], s[4:5], 0x18
	s_waitcnt lgkmcnt(0)
	s_load_dwordx4 s[8:11], s[8:9], 0x0
	buffer_load_dword v0, off, s[64:67], 0  ; 4-byte Folded Reload
	buffer_load_dword v1, off, s[64:67], 0 offset:4 ; 4-byte Folded Reload
	s_waitcnt lgkmcnt(0)
	v_mad_u64_u32 v[2:3], s[16:17], s8, v178, 0
	s_waitcnt vmcnt(1)
	v_mov_b32_e32 v4, v0
	s_waitcnt vmcnt(0)
	v_mad_u64_u32 v[0:1], s[16:17], s10, v4, 0
	v_mad_u64_u32 v[4:5], s[10:11], s11, v4, v[1:2]
	;; [unrolled: 1-line block ×3, first 2 shown]
	v_mov_b32_e32 v1, v4
	v_lshlrev_b64 v[0:1], 4, v[0:1]
	v_mov_b32_e32 v3, v5
	v_mov_b32_e32 v6, s3
	v_lshlrev_b64 v[2:3], 4, v[2:3]
	v_add_co_u32_e32 v0, vcc, s2, v0
	v_addc_co_u32_e32 v1, vcc, v6, v1, vcc
	v_add_co_u32_e32 v8, vcc, v0, v2
	v_addc_co_u32_e32 v9, vcc, v1, v3, vcc
	v_mov_b32_e32 v0, s13
	v_add_co_u32_e32 v24, vcc, s12, v255
	s_mul_i32 s2, s9, 0x640
	s_mul_hi_u32 s3, s8, 0x640
	v_addc_co_u32_e32 v25, vcc, 0, v0, vcc
	s_add_i32 s2, s3, s2
	s_mul_i32 s3, s8, 0x640
	v_mov_b32_e32 v0, s2
	v_add_co_u32_e32 v10, vcc, s3, v8
	v_addc_co_u32_e32 v11, vcc, v9, v0, vcc
	global_load_dwordx4 v[0:3], v[8:9], off
	global_load_dwordx4 v[4:7], v[10:11], off
	v_mov_b32_e32 v8, s2
	v_add_co_u32_e32 v26, vcc, s3, v10
	v_addc_co_u32_e32 v27, vcc, v11, v8, vcc
	v_mov_b32_e32 v16, s2
	v_add_co_u32_e32 v28, vcc, s3, v26
	v_addc_co_u32_e32 v29, vcc, v27, v16, vcc
	s_movk_i32 s8, 0x1000
	v_add_co_u32_e32 v46, vcc, s8, v24
	v_addc_co_u32_e32 v47, vcc, 0, v25, vcc
	global_load_dwordx4 v[8:11], v255, s[12:13] offset:1600
	global_load_dwordx4 v[12:15], v255, s[12:13] offset:3200
	global_load_dwordx4 v[16:19], v[26:27], off
	global_load_dwordx4 v[20:23], v[28:29], off
	v_mov_b32_e32 v26, s2
	v_add_co_u32_e32 v38, vcc, s3, v28
	v_addc_co_u32_e32 v39, vcc, v29, v26, vcc
	v_mov_b32_e32 v40, s2
	v_add_co_u32_e32 v54, vcc, s3, v38
	v_addc_co_u32_e32 v55, vcc, v39, v40, vcc
	s_movk_i32 s8, 0x2000
	v_add_co_u32_e32 v70, vcc, s8, v24
	s_movk_i32 s9, 0x6000
	v_addc_co_u32_e32 v71, vcc, 0, v25, vcc
	v_add_co_u32_e32 v56, vcc, s9, v24
	v_addc_co_u32_e32 v57, vcc, 0, v25, vcc
	global_load_dwordx4 v[26:29], v[38:39], off
	global_load_dwordx4 v[30:33], v[46:47], off offset:704
	global_load_dwordx4 v[34:37], v[46:47], off offset:2304
	s_nop 0
	global_load_dwordx4 v[38:41], v[46:47], off offset:3904
	global_load_dwordx4 v[42:45], v[54:55], off
	s_nop 0
	global_load_dwordx4 v[46:49], v255, s[12:13]
	global_load_dwordx4 v[50:53], v[56:57], off offset:1024
	v_mov_b32_e32 v56, s2
	v_add_co_u32_e32 v58, vcc, s3, v54
	v_addc_co_u32_e32 v59, vcc, v55, v56, vcc
	v_mov_b32_e32 v60, s2
	v_add_co_u32_e32 v72, vcc, s3, v58
	v_addc_co_u32_e32 v73, vcc, v59, v60, vcc
	global_load_dwordx4 v[54:57], v[58:59], off
	s_nop 0
	global_load_dwordx4 v[58:61], v[72:73], off
	global_load_dwordx4 v[62:65], v[70:71], off offset:1408
	global_load_dwordx4 v[66:69], v[70:71], off offset:3008
	v_mov_b32_e32 v70, s2
	v_add_co_u32_e32 v74, vcc, s3, v72
	v_addc_co_u32_e32 v75, vcc, v73, v70, vcc
	s_movk_i32 s8, 0x3000
	v_add_co_u32_e32 v94, vcc, s8, v24
	v_addc_co_u32_e32 v95, vcc, 0, v25, vcc
	v_mov_b32_e32 v76, s2
	v_add_co_u32_e32 v86, vcc, s3, v74
	v_addc_co_u32_e32 v87, vcc, v75, v76, vcc
	v_mov_b32_e32 v88, s2
	v_add_co_u32_e32 v96, vcc, s3, v86
	v_addc_co_u32_e32 v97, vcc, v87, v88, vcc
	global_load_dwordx4 v[70:73], v[74:75], off
	s_nop 0
	global_load_dwordx4 v[74:77], v[86:87], off
	global_load_dwordx4 v[78:81], v[94:95], off offset:512
	global_load_dwordx4 v[82:85], v[94:95], off offset:2112
	s_nop 0
	global_load_dwordx4 v[86:89], v[96:97], off
	global_load_dwordx4 v[90:93], v[94:95], off offset:3712
	v_mov_b32_e32 v94, s2
	v_add_co_u32_e32 v98, vcc, s3, v96
	v_addc_co_u32_e32 v99, vcc, v97, v94, vcc
	s_movk_i32 s8, 0x4000
	v_add_co_u32_e32 v110, vcc, s8, v24
	v_addc_co_u32_e32 v111, vcc, 0, v25, vcc
	v_mov_b32_e32 v100, s2
	v_add_co_u32_e32 v112, vcc, s3, v98
	v_addc_co_u32_e32 v113, vcc, v99, v100, vcc
	global_load_dwordx4 v[94:97], v[98:99], off
	s_nop 0
	global_load_dwordx4 v[98:101], v[112:113], off
	global_load_dwordx4 v[102:105], v[110:111], off offset:1216
	global_load_dwordx4 v[106:109], v[110:111], off offset:2816
	v_mov_b32_e32 v110, s2
	v_add_co_u32_e32 v114, vcc, s3, v112
	v_addc_co_u32_e32 v115, vcc, v113, v110, vcc
	s_movk_i32 s8, 0x5000
	v_add_co_u32_e32 v24, vcc, s8, v24
	v_addc_co_u32_e32 v25, vcc, 0, v25, vcc
	v_mov_b32_e32 v116, s2
	v_add_co_u32_e32 v126, vcc, s3, v114
	v_addc_co_u32_e32 v127, vcc, v115, v116, vcc
	v_mov_b32_e32 v128, s2
	v_add_co_u32_e32 v134, vcc, s3, v126
	global_load_dwordx4 v[110:113], v[114:115], off
	v_addc_co_u32_e32 v135, vcc, v127, v128, vcc
	global_load_dwordx4 v[114:117], v[126:127], off
	global_load_dwordx4 v[118:121], v[24:25], off offset:320
	global_load_dwordx4 v[122:125], v[24:25], off offset:1920
	s_nop 0
	global_load_dwordx4 v[126:129], v[134:135], off
	global_load_dwordx4 v[130:133], v[24:25], off offset:3520
	v_mov_b32_e32 v25, s2
	v_add_co_u32_e32 v24, vcc, s3, v134
	v_addc_co_u32_e32 v25, vcc, v135, v25, vcc
	global_load_dwordx4 v[134:137], v[24:25], off
	s_waitcnt vmcnt(22)
	v_mul_f64 v[24:25], v[2:3], v[48:49]
	v_mul_f64 v[138:139], v[6:7], v[10:11]
	;; [unrolled: 1-line block ×12, first 2 shown]
	v_fma_f64 v[0:1], v[0:1], v[46:47], v[24:25]
	v_fma_f64 v[4:5], v[4:5], v[8:9], v[138:139]
	v_fma_f64 v[6:7], v[6:7], v[8:9], -v[10:11]
	v_fma_f64 v[8:9], v[16:17], v[12:13], v[140:141]
	v_fma_f64 v[16:17], v[26:27], v[34:35], v[144:145]
	s_waitcnt vmcnt(18)
	v_mul_f64 v[24:25], v[56:57], v[64:65]
	v_mul_f64 v[26:27], v[54:55], v[64:65]
	v_fma_f64 v[2:3], v[2:3], v[46:47], -v[48:49]
	v_fma_f64 v[10:11], v[18:19], v[12:13], -v[14:15]
	v_fma_f64 v[12:13], v[20:21], v[30:31], v[142:143]
	v_fma_f64 v[14:15], v[22:23], v[30:31], -v[32:33]
	v_fma_f64 v[18:19], v[28:29], v[34:35], -v[36:37]
	s_waitcnt vmcnt(17)
	v_mul_f64 v[28:29], v[60:61], v[68:69]
	v_mul_f64 v[30:31], v[58:59], v[68:69]
	v_fma_f64 v[20:21], v[42:43], v[38:39], v[146:147]
	v_fma_f64 v[22:23], v[44:45], v[38:39], -v[40:41]
	v_fma_f64 v[24:25], v[54:55], v[62:63], v[24:25]
	v_fma_f64 v[26:27], v[56:57], v[62:63], -v[26:27]
	ds_write_b128 v255, v[0:3]
	s_waitcnt vmcnt(14)
	v_mul_f64 v[32:33], v[72:73], v[80:81]
	v_mul_f64 v[34:35], v[70:71], v[80:81]
	v_fma_f64 v[0:1], v[58:59], v[66:67], v[28:29]
	v_fma_f64 v[2:3], v[60:61], v[66:67], -v[30:31]
	v_fma_f64 v[28:29], v[70:71], v[78:79], v[32:33]
	v_fma_f64 v[30:31], v[72:73], v[78:79], -v[34:35]
	ds_write_b128 v255, v[4:7] offset:1600
	ds_write_b128 v255, v[8:11] offset:3200
	;; [unrolled: 1-line block ×8, first 2 shown]
	s_waitcnt vmcnt(13)
	v_mul_f64 v[0:1], v[76:77], v[84:85]
	v_mul_f64 v[2:3], v[74:75], v[84:85]
	s_waitcnt vmcnt(11)
	v_mul_f64 v[4:5], v[88:89], v[92:93]
	v_mul_f64 v[6:7], v[86:87], v[92:93]
	;; [unrolled: 3-line block ×4, first 2 shown]
	v_fma_f64 v[0:1], v[74:75], v[82:83], v[0:1]
	v_fma_f64 v[2:3], v[76:77], v[82:83], -v[2:3]
	v_fma_f64 v[4:5], v[86:87], v[90:91], v[4:5]
	v_fma_f64 v[6:7], v[88:89], v[90:91], -v[6:7]
	;; [unrolled: 2-line block ×4, first 2 shown]
	s_waitcnt vmcnt(4)
	v_mul_f64 v[16:17], v[112:113], v[120:121]
	v_mul_f64 v[18:19], v[110:111], v[120:121]
	s_waitcnt vmcnt(3)
	v_mul_f64 v[20:21], v[116:117], v[124:125]
	v_mul_f64 v[22:23], v[114:115], v[124:125]
	s_waitcnt vmcnt(1)
	v_mul_f64 v[24:25], v[128:129], v[132:133]
	v_mul_f64 v[26:27], v[126:127], v[132:133]
	s_waitcnt vmcnt(0)
	v_mul_f64 v[28:29], v[136:137], v[52:53]
	v_mul_f64 v[30:31], v[134:135], v[52:53]
	v_fma_f64 v[16:17], v[110:111], v[118:119], v[16:17]
	v_fma_f64 v[18:19], v[112:113], v[118:119], -v[18:19]
	v_fma_f64 v[20:21], v[114:115], v[122:123], v[20:21]
	v_fma_f64 v[22:23], v[116:117], v[122:123], -v[22:23]
	;; [unrolled: 2-line block ×4, first 2 shown]
	ds_write_b128 v255, v[0:3] offset:14400
	ds_write_b128 v255, v[4:7] offset:16000
	;; [unrolled: 1-line block ×8, first 2 shown]
.LBB0_3:
	s_or_b64 exec, exec, s[6:7]
	s_load_dwordx2 s[6:7], s[4:5], 0x20
	s_load_dwordx2 s[2:3], s[4:5], 0x8
	s_waitcnt vmcnt(0) lgkmcnt(0)
	s_barrier
	s_waitcnt lgkmcnt(0)
                                        ; implicit-def: $vgpr28_vgpr29
                                        ; implicit-def: $vgpr84_vgpr85
                                        ; implicit-def: $vgpr88_vgpr89
                                        ; implicit-def: $vgpr92_vgpr93
                                        ; implicit-def: $vgpr80_vgpr81
                                        ; implicit-def: $vgpr76_vgpr77
                                        ; implicit-def: $vgpr40_vgpr41
                                        ; implicit-def: $vgpr32_vgpr33
                                        ; implicit-def: $vgpr36_vgpr37
                                        ; implicit-def: $vgpr44_vgpr45
                                        ; implicit-def: $vgpr48_vgpr49
                                        ; implicit-def: $vgpr52_vgpr53
                                        ; implicit-def: $vgpr56_vgpr57
                                        ; implicit-def: $vgpr60_vgpr61
                                        ; implicit-def: $vgpr64_vgpr65
                                        ; implicit-def: $vgpr68_vgpr69
                                        ; implicit-def: $vgpr72_vgpr73
	s_and_saveexec_b64 s[4:5], s[0:1]
	s_cbranch_execz .LBB0_5
; %bb.4:
	ds_read_b128 v[28:31], v255
	ds_read_b128 v[84:87], v255 offset:1600
	ds_read_b128 v[88:91], v255 offset:3200
	;; [unrolled: 1-line block ×16, first 2 shown]
.LBB0_5:
	s_or_b64 exec, exec, s[4:5]
	s_waitcnt lgkmcnt(2)
	v_add_f64 v[185:186], v[94:95], -v[66:67]
	v_add_f64 v[174:175], v[92:93], -v[64:65]
	s_mov_b32 s28, 0x7c9e640b
	s_mov_b32 s29, 0xbfeca52d
	s_waitcnt lgkmcnt(0)
	v_add_f64 v[142:143], v[86:87], -v[74:75]
	v_add_f64 v[134:135], v[84:85], -v[72:73]
	s_mov_b32 s18, 0x5d8e7cdc
	s_mov_b32 s19, 0xbfd71e95
	v_mul_f64 v[8:9], v[185:186], s[28:29]
	v_mul_f64 v[10:11], v[174:175], s[28:29]
	v_add_f64 v[104:105], v[84:85], v[72:73]
	v_add_f64 v[106:107], v[86:87], v[74:75]
	v_mul_f64 v[110:111], v[142:143], s[18:19]
	v_mul_f64 v[118:119], v[134:135], s[18:19]
	v_add_f64 v[170:171], v[90:91], -v[70:71]
	v_add_f64 v[156:157], v[88:89], -v[68:69]
	buffer_store_dword v8, off, s[64:67], 0 offset:124 ; 4-byte Folded Spill
	s_nop 0
	buffer_store_dword v9, off, s[64:67], 0 offset:128 ; 4-byte Folded Spill
	buffer_store_dword v10, off, s[64:67], 0 offset:140 ; 4-byte Folded Spill
	s_nop 0
	buffer_store_dword v11, off, s[64:67], 0 offset:144 ; 4-byte Folded Spill
	s_mov_b32 s4, 0x370991
	s_mov_b32 s24, 0x2a9d6da3
	;; [unrolled: 1-line block ×4, first 2 shown]
	v_fma_f64 v[0:1], v[104:105], s[4:5], v[110:111]
	v_fma_f64 v[2:3], v[106:107], s[4:5], -v[118:119]
	v_add_f64 v[114:115], v[88:89], v[68:69]
	v_add_f64 v[116:117], v[90:91], v[70:71]
	v_mul_f64 v[124:125], v[170:171], s[24:25]
	v_mul_f64 v[128:129], v[156:157], s[24:25]
	s_mov_b32 s8, 0x75d4884
	s_mov_b32 s9, 0x3fe7a5f6
	v_add_f64 v[0:1], v[28:29], v[0:1]
	v_add_f64 v[2:3], v[30:31], v[2:3]
	;; [unrolled: 1-line block ×4, first 2 shown]
	v_fma_f64 v[4:5], v[114:115], s[8:9], v[124:125]
	v_fma_f64 v[6:7], v[116:117], s[8:9], -v[128:129]
	v_add_f64 v[187:188], v[82:83], -v[62:63]
	v_add_f64 v[201:202], v[80:81], -v[60:61]
	s_mov_b32 s10, 0x2b2883cd
	s_mov_b32 s30, 0xeb564b22
	;; [unrolled: 1-line block ×4, first 2 shown]
	v_add_f64 v[0:1], v[4:5], v[0:1]
	v_add_f64 v[2:3], v[6:7], v[2:3]
	;; [unrolled: 1-line block ×4, first 2 shown]
	v_add_f64 v[215:216], v[78:79], -v[58:59]
	v_add_f64 v[221:222], v[76:77], -v[56:57]
	s_mov_b32 s16, 0x3259b75e
	s_mov_b32 s38, 0x923c349f
	s_mov_b32 s17, 0x3fb79ee6
	s_mov_b32 s39, 0xbfeec746
	v_add_f64 v[144:145], v[76:77], v[56:57]
	v_add_f64 v[146:147], v[78:79], v[58:59]
	v_add_f64 v[237:238], v[42:43], -v[54:55]
	v_add_f64 v[231:232], v[40:41], -v[52:53]
	s_mov_b32 s20, 0xc61f0d01
	s_mov_b32 s40, 0x6c9a05f6
	s_mov_b32 s21, 0xbfd183b1
	s_mov_b32 s41, 0xbfe9895b
	v_add_f64 v[148:149], v[40:41], v[52:53]
	v_add_f64 v[150:151], v[42:43], v[54:55]
	;; [unrolled: 8-line block ×3, first 2 shown]
	s_mov_b32 s22, 0x910ea3b9
	s_mov_b32 s23, 0xbfeb34fa
	v_mul_f64 v[16:17], v[185:186], s[40:41]
	v_mul_f64 v[18:19], v[174:175], s[40:41]
	v_add_f64 v[126:127], v[38:39], -v[46:47]
	v_add_f64 v[112:113], v[36:37], -v[44:45]
	s_mov_b32 s44, 0xacd6c6b4
	s_mov_b32 s45, 0xbfc7851a
	v_add_f64 v[179:180], v[36:37], v[44:45]
	v_add_f64 v[181:182], v[38:39], v[46:47]
	s_mov_b32 s34, 0x7faef3
	s_mov_b32 s35, 0xbfef7484
	v_mul_f64 v[12:13], v[126:127], s[44:45]
	v_mul_f64 v[14:15], v[112:113], s[44:45]
	s_mov_b32 s47, 0x3fe0d888
	s_mov_b32 s46, s42
	v_mul_f64 v[20:21], v[142:143], s[28:29]
	v_mul_f64 v[22:23], v[134:135], s[28:29]
	s_mov_b32 s49, 0x3feec746
	s_mov_b32 s48, s38
	;; [unrolled: 1-line block ×7, first 2 shown]
	v_fma_f64 v[4:5], v[120:121], s[10:11], v[8:9]
	v_fma_f64 v[6:7], v[122:123], s[10:11], -v[10:11]
	v_mul_f64 v[8:9], v[187:188], s[30:31]
	v_mul_f64 v[10:11], v[201:202], s[30:31]
	s_mov_b32 s52, s24
	s_mov_b32 s55, 0x3fd71e95
	;; [unrolled: 1-line block ×3, first 2 shown]
	v_mul_f64 v[138:139], v[174:175], s[48:49]
	buffer_store_dword v8, off, s[64:67], 0 offset:156 ; 4-byte Folded Spill
	s_nop 0
	buffer_store_dword v9, off, s[64:67], 0 offset:160 ; 4-byte Folded Spill
	buffer_store_dword v10, off, s[64:67], 0 offset:172 ; 4-byte Folded Spill
	s_nop 0
	buffer_store_dword v11, off, s[64:67], 0 offset:176 ; 4-byte Folded Spill
	v_add_f64 v[0:1], v[4:5], v[0:1]
	v_add_f64 v[2:3], v[6:7], v[2:3]
	v_mul_f64 v[130:131], v[201:202], s[54:55]
	v_mul_f64 v[140:141], v[221:222], s[28:29]
	;; [unrolled: 1-line block ×3, first 2 shown]
	s_mov_b32 s59, 0x3fe9895b
	s_mov_b32 s58, s40
	v_mul_f64 v[154:155], v[249:250], s[58:59]
	v_mul_f64 v[158:159], v[112:113], s[52:53]
	;; [unrolled: 1-line block ×12, first 2 shown]
	s_mov_b32 s61, 0x3fefdd0d
	s_mov_b32 s60, s30
	v_mul_f64 v[183:184], v[237:238], s[60:61]
	v_mul_f64 v[205:206], v[231:232], s[60:61]
	;; [unrolled: 1-line block ×26, first 2 shown]
	v_fma_f64 v[4:5], v[132:133], s[16:17], v[8:9]
	v_fma_f64 v[6:7], v[136:137], s[16:17], -v[10:11]
	v_mul_f64 v[8:9], v[215:216], s[38:39]
	v_mul_f64 v[10:11], v[221:222], s[38:39]
	buffer_store_dword v8, off, s[64:67], 0 offset:188 ; 4-byte Folded Spill
	s_nop 0
	buffer_store_dword v9, off, s[64:67], 0 offset:192 ; 4-byte Folded Spill
	buffer_store_dword v10, off, s[64:67], 0 offset:204 ; 4-byte Folded Spill
	s_nop 0
	buffer_store_dword v11, off, s[64:67], 0 offset:208 ; 4-byte Folded Spill
	v_add_f64 v[0:1], v[4:5], v[0:1]
	v_add_f64 v[2:3], v[6:7], v[2:3]
	v_fma_f64 v[4:5], v[144:145], s[20:21], v[8:9]
	v_fma_f64 v[6:7], v[146:147], s[20:21], -v[10:11]
	v_mul_f64 v[8:9], v[237:238], s[40:41]
	v_mul_f64 v[10:11], v[231:232], s[40:41]
	buffer_store_dword v8, off, s[64:67], 0 offset:220 ; 4-byte Folded Spill
	s_nop 0
	buffer_store_dword v9, off, s[64:67], 0 offset:224 ; 4-byte Folded Spill
	buffer_store_dword v10, off, s[64:67], 0 offset:236 ; 4-byte Folded Spill
	s_nop 0
	buffer_store_dword v11, off, s[64:67], 0 offset:240 ; 4-byte Folded Spill
	v_add_f64 v[0:1], v[4:5], v[0:1]
	v_add_f64 v[2:3], v[6:7], v[2:3]
	;; [unrolled: 12-line block ×4, first 2 shown]
	v_fma_f64 v[4:5], v[104:105], s[8:9], v[8:9]
	v_mul_f64 v[8:9], v[170:171], s[30:31]
	v_fma_f64 v[6:7], v[106:107], s[8:9], -v[10:11]
	v_mul_f64 v[10:11], v[156:157], s[30:31]
	buffer_store_dword v8, off, s[64:67], 0 offset:324 ; 4-byte Folded Spill
	s_nop 0
	buffer_store_dword v9, off, s[64:67], 0 offset:328 ; 4-byte Folded Spill
	buffer_store_dword v10, off, s[64:67], 0 offset:404 ; 4-byte Folded Spill
	s_nop 0
	buffer_store_dword v11, off, s[64:67], 0 offset:408 ; 4-byte Folded Spill
	;; [unrolled: 3-line block ×4, first 2 shown]
	v_add_f64 v[4:5], v[28:29], v[4:5]
	v_add_f64 v[6:7], v[30:31], v[6:7]
	buffer_store_dword v12, off, s[64:67], 0 offset:284 ; 4-byte Folded Spill
	s_nop 0
	buffer_store_dword v13, off, s[64:67], 0 offset:288 ; 4-byte Folded Spill
	buffer_store_dword v14, off, s[64:67], 0 offset:300 ; 4-byte Folded Spill
	s_nop 0
	buffer_store_dword v15, off, s[64:67], 0 offset:304 ; 4-byte Folded Spill
	v_fma_f64 v[8:9], v[114:115], s[16:17], v[8:9]
	v_fma_f64 v[10:11], v[116:117], s[16:17], -v[10:11]
	v_fma_f64 v[12:13], v[179:180], s[34:35], v[12:13]
	v_add_f64 v[4:5], v[8:9], v[4:5]
	v_fma_f64 v[8:9], v[120:121], s[26:27], v[16:17]
	v_add_f64 v[6:7], v[10:11], v[6:7]
	v_fma_f64 v[10:11], v[122:123], s[26:27], -v[18:19]
	v_mul_f64 v[16:17], v[187:188], s[44:45]
	v_mul_f64 v[18:19], v[201:202], s[44:45]
	buffer_store_dword v16, off, s[64:67], 0 offset:340 ; 4-byte Folded Spill
	s_nop 0
	buffer_store_dword v17, off, s[64:67], 0 offset:344 ; 4-byte Folded Spill
	buffer_store_dword v18, off, s[64:67], 0 offset:388 ; 4-byte Folded Spill
	s_nop 0
	buffer_store_dword v19, off, s[64:67], 0 offset:392 ; 4-byte Folded Spill
	v_fma_f64 v[14:15], v[181:182], s[34:35], -v[14:15]
	v_add_f64 v[4:5], v[8:9], v[4:5]
	v_add_f64 v[6:7], v[10:11], v[6:7]
	;; [unrolled: 1-line block ×3, first 2 shown]
	v_mul_f64 v[12:13], v[170:171], s[40:41]
	v_add_f64 v[2:3], v[14:15], v[2:3]
	buffer_store_dword v0, off, s[64:67], 0 offset:8 ; 4-byte Folded Spill
	s_nop 0
	buffer_store_dword v1, off, s[64:67], 0 offset:12 ; 4-byte Folded Spill
	buffer_store_dword v2, off, s[64:67], 0 offset:16 ; 4-byte Folded Spill
	;; [unrolled: 1-line block ×3, first 2 shown]
	v_mul_f64 v[14:15], v[156:157], s[40:41]
	v_fma_f64 v[8:9], v[132:133], s[34:35], v[16:17]
	v_fma_f64 v[10:11], v[136:137], s[34:35], -v[18:19]
	v_mul_f64 v[16:17], v[215:216], s[46:47]
	v_mul_f64 v[18:19], v[221:222], s[46:47]
	buffer_store_dword v16, off, s[64:67], 0 offset:348 ; 4-byte Folded Spill
	s_nop 0
	buffer_store_dword v17, off, s[64:67], 0 offset:352 ; 4-byte Folded Spill
	buffer_store_dword v18, off, s[64:67], 0 offset:380 ; 4-byte Folded Spill
	s_nop 0
	buffer_store_dword v19, off, s[64:67], 0 offset:384 ; 4-byte Folded Spill
	;; [unrolled: 3-line block ×4, first 2 shown]
	v_add_f64 v[0:1], v[8:9], v[4:5]
	v_add_f64 v[2:3], v[10:11], v[6:7]
	buffer_store_dword v12, off, s[64:67], 0 offset:484 ; 4-byte Folded Spill
	s_nop 0
	buffer_store_dword v13, off, s[64:67], 0 offset:488 ; 4-byte Folded Spill
	buffer_store_dword v14, off, s[64:67], 0 offset:524 ; 4-byte Folded Spill
	s_nop 0
	buffer_store_dword v15, off, s[64:67], 0 offset:528 ; 4-byte Folded Spill
	v_fma_f64 v[4:5], v[144:145], s[22:23], v[16:17]
	v_fma_f64 v[6:7], v[146:147], s[22:23], -v[18:19]
	v_fma_f64 v[8:9], v[104:105], s[10:11], v[20:21]
	v_fma_f64 v[10:11], v[106:107], s[10:11], -v[22:23]
	v_mul_f64 v[16:17], v[237:238], s[48:49]
	v_mul_f64 v[18:19], v[231:232], s[48:49]
	;; [unrolled: 1-line block ×4, first 2 shown]
	buffer_store_dword v16, off, s[64:67], 0 offset:356 ; 4-byte Folded Spill
	s_nop 0
	buffer_store_dword v17, off, s[64:67], 0 offset:360 ; 4-byte Folded Spill
	buffer_store_dword v18, off, s[64:67], 0 offset:428 ; 4-byte Folded Spill
	s_nop 0
	buffer_store_dword v19, off, s[64:67], 0 offset:432 ; 4-byte Folded Spill
	;; [unrolled: 3-line block ×4, first 2 shown]
	v_add_f64 v[8:9], v[28:29], v[8:9]
	v_fma_f64 v[12:13], v[114:115], s[26:27], v[12:13]
	v_add_f64 v[10:11], v[30:31], v[10:11]
	v_fma_f64 v[14:15], v[116:117], s[26:27], -v[14:15]
	v_add_f64 v[0:1], v[4:5], v[0:1]
	v_add_f64 v[2:3], v[6:7], v[2:3]
	;; [unrolled: 1-line block ×4, first 2 shown]
	v_fma_f64 v[4:5], v[148:149], s[20:21], v[16:17]
	v_fma_f64 v[6:7], v[150:151], s[20:21], -v[18:19]
	v_fma_f64 v[12:13], v[120:121], s[34:35], v[20:21]
	v_fma_f64 v[14:15], v[122:123], s[34:35], -v[22:23]
	v_mul_f64 v[20:21], v[187:188], s[48:49]
	v_mul_f64 v[22:23], v[201:202], s[48:49]
	buffer_store_dword v20, off, s[64:67], 0 offset:500 ; 4-byte Folded Spill
	s_nop 0
	buffer_store_dword v21, off, s[64:67], 0 offset:504 ; 4-byte Folded Spill
	buffer_store_dword v22, off, s[64:67], 0 offset:540 ; 4-byte Folded Spill
	s_nop 0
	buffer_store_dword v23, off, s[64:67], 0 offset:544 ; 4-byte Folded Spill
	v_mul_f64 v[16:17], v[251:252], s[50:51]
	v_mul_f64 v[18:19], v[249:250], s[50:51]
	v_add_f64 v[8:9], v[12:13], v[8:9]
	v_add_f64 v[10:11], v[14:15], v[10:11]
	buffer_store_dword v16, off, s[64:67], 0 offset:364 ; 4-byte Folded Spill
	s_nop 0
	buffer_store_dword v17, off, s[64:67], 0 offset:368 ; 4-byte Folded Spill
	buffer_store_dword v18, off, s[64:67], 0 offset:420 ; 4-byte Folded Spill
	s_nop 0
	buffer_store_dword v19, off, s[64:67], 0 offset:424 ; 4-byte Folded Spill
	v_add_f64 v[0:1], v[4:5], v[0:1]
	v_add_f64 v[2:3], v[6:7], v[2:3]
	v_fma_f64 v[12:13], v[132:133], s[20:21], v[20:21]
	v_fma_f64 v[14:15], v[136:137], s[20:21], -v[22:23]
	v_mul_f64 v[20:21], v[215:216], s[52:53]
	v_mul_f64 v[22:23], v[221:222], s[52:53]
	buffer_store_dword v20, off, s[64:67], 0 offset:508 ; 4-byte Folded Spill
	s_nop 0
	buffer_store_dword v21, off, s[64:67], 0 offset:512 ; 4-byte Folded Spill
	buffer_store_dword v22, off, s[64:67], 0 offset:548 ; 4-byte Folded Spill
	s_nop 0
	buffer_store_dword v23, off, s[64:67], 0 offset:552 ; 4-byte Folded Spill
	v_fma_f64 v[4:5], v[160:161], s[10:11], v[16:17]
	v_fma_f64 v[6:7], v[162:163], s[10:11], -v[18:19]
	v_add_f64 v[8:9], v[12:13], v[8:9]
	v_add_f64 v[10:11], v[14:15], v[10:11]
	v_mul_f64 v[16:17], v[126:127], s[54:55]
	v_mul_f64 v[18:19], v[112:113], s[54:55]
	v_add_f64 v[0:1], v[4:5], v[0:1]
	v_add_f64 v[2:3], v[6:7], v[2:3]
	v_fma_f64 v[12:13], v[144:145], s[8:9], v[20:21]
	v_fma_f64 v[14:15], v[146:147], s[8:9], -v[22:23]
	v_mul_f64 v[20:21], v[237:238], s[18:19]
	v_mul_f64 v[22:23], v[231:232], s[18:19]
	buffer_store_dword v20, off, s[64:67], 0 offset:444 ; 4-byte Folded Spill
	s_nop 0
	buffer_store_dword v21, off, s[64:67], 0 offset:448 ; 4-byte Folded Spill
	buffer_store_dword v22, off, s[64:67], 0 offset:556 ; 4-byte Folded Spill
	s_nop 0
	buffer_store_dword v23, off, s[64:67], 0 offset:560 ; 4-byte Folded Spill
	;; [unrolled: 3-line block ×4, first 2 shown]
	v_add_f64 v[8:9], v[12:13], v[8:9]
	v_add_f64 v[10:11], v[14:15], v[10:11]
	v_fma_f64 v[12:13], v[148:149], s[4:5], v[20:21]
	v_fma_f64 v[14:15], v[150:151], s[4:5], -v[22:23]
	v_mul_f64 v[20:21], v[251:252], s[30:31]
	v_mul_f64 v[22:23], v[249:250], s[30:31]
	v_fma_f64 v[4:5], v[179:180], s[4:5], v[16:17]
	v_fma_f64 v[6:7], v[181:182], s[4:5], -v[18:19]
	buffer_store_dword v20, off, s[64:67], 0 offset:452 ; 4-byte Folded Spill
	s_nop 0
	buffer_store_dword v21, off, s[64:67], 0 offset:456 ; 4-byte Folded Spill
	buffer_store_dword v22, off, s[64:67], 0 offset:564 ; 4-byte Folded Spill
	s_nop 0
	buffer_store_dword v23, off, s[64:67], 0 offset:568 ; 4-byte Folded Spill
	v_mul_f64 v[16:17], v[126:127], s[42:43]
	v_mul_f64 v[18:19], v[112:113], s[42:43]
	v_add_f64 v[0:1], v[4:5], v[0:1]
	v_add_f64 v[2:3], v[6:7], v[2:3]
	buffer_store_dword v0, off, s[64:67], 0 offset:24 ; 4-byte Folded Spill
	s_nop 0
	buffer_store_dword v1, off, s[64:67], 0 offset:28 ; 4-byte Folded Spill
	buffer_store_dword v2, off, s[64:67], 0 offset:32 ; 4-byte Folded Spill
	;; [unrolled: 1-line block ×4, first 2 shown]
	s_nop 0
	buffer_store_dword v17, off, s[64:67], 0 offset:464 ; 4-byte Folded Spill
	buffer_store_dword v18, off, s[64:67], 0 offset:468 ; 4-byte Folded Spill
	s_nop 0
	buffer_store_dword v19, off, s[64:67], 0 offset:472 ; 4-byte Folded Spill
	v_add_f64 v[8:9], v[12:13], v[8:9]
	v_add_f64 v[10:11], v[14:15], v[10:11]
	v_fma_f64 v[12:13], v[160:161], s[16:17], v[20:21]
	v_fma_f64 v[14:15], v[162:163], s[16:17], -v[22:23]
	v_mul_f64 v[20:21], v[142:143], s[30:31]
	buffer_store_dword v20, off, s[64:67], 0 offset:572 ; 4-byte Folded Spill
	s_nop 0
	buffer_store_dword v21, off, s[64:67], 0 offset:576 ; 4-byte Folded Spill
	v_add_f64 v[0:1], v[12:13], v[8:9]
	v_add_f64 v[2:3], v[14:15], v[10:11]
	v_mul_f64 v[10:11], v[170:171], s[44:45]
	v_fma_f64 v[4:5], v[179:180], s[22:23], v[16:17]
	v_fma_f64 v[6:7], v[181:182], s[22:23], -v[18:19]
	v_mul_f64 v[14:15], v[134:135], s[42:43]
	v_mul_f64 v[18:19], v[174:175], s[30:31]
	v_add_f64 v[0:1], v[4:5], v[0:1]
	v_add_f64 v[2:3], v[6:7], v[2:3]
	buffer_store_dword v0, off, s[64:67], 0 offset:40 ; 4-byte Folded Spill
	s_nop 0
	buffer_store_dword v1, off, s[64:67], 0 offset:44 ; 4-byte Folded Spill
	buffer_store_dword v2, off, s[64:67], 0 offset:48 ; 4-byte Folded Spill
	;; [unrolled: 1-line block ×4, first 2 shown]
	s_nop 0
	buffer_store_dword v11, off, s[64:67], 0 offset:592 ; 4-byte Folded Spill
	v_mul_f64 v[4:5], v[134:135], s[30:31]
	buffer_store_dword v4, off, s[64:67], 0 offset:628 ; 4-byte Folded Spill
	s_nop 0
	buffer_store_dword v5, off, s[64:67], 0 offset:632 ; 4-byte Folded Spill
	v_fma_f64 v[8:9], v[104:105], s[16:17], v[20:21]
	v_add_f64 v[0:1], v[28:29], v[8:9]
	v_fma_f64 v[2:3], v[114:115], s[34:35], v[10:11]
	v_fma_f64 v[10:11], v[116:117], s[10:11], -v[98:99]
	v_add_f64 v[0:1], v[2:3], v[0:1]
	v_fma_f64 v[2:3], v[106:107], s[16:17], -v[4:5]
	v_mul_f64 v[4:5], v[156:157], s[44:45]
	buffer_store_dword v4, off, s[64:67], 0 offset:636 ; 4-byte Folded Spill
	s_nop 0
	buffer_store_dword v5, off, s[64:67], 0 offset:640 ; 4-byte Folded Spill
	v_add_f64 v[2:3], v[30:31], v[2:3]
	v_fma_f64 v[4:5], v[116:117], s[34:35], -v[4:5]
	v_add_f64 v[2:3], v[4:5], v[2:3]
	v_mul_f64 v[4:5], v[185:186], s[48:49]
	buffer_store_dword v4, off, s[64:67], 0 offset:612 ; 4-byte Folded Spill
	s_nop 0
	buffer_store_dword v5, off, s[64:67], 0 offset:616 ; 4-byte Folded Spill
	v_fma_f64 v[4:5], v[120:121], s[20:21], v[4:5]
	v_add_f64 v[0:1], v[4:5], v[0:1]
	v_fma_f64 v[4:5], v[122:123], s[20:21], -v[138:139]
	v_add_f64 v[2:3], v[4:5], v[2:3]
	v_mul_f64 v[4:5], v[187:188], s[54:55]
	buffer_store_dword v4, off, s[64:67], 0 offset:604 ; 4-byte Folded Spill
	s_nop 0
	buffer_store_dword v5, off, s[64:67], 0 offset:608 ; 4-byte Folded Spill
	v_fma_f64 v[4:5], v[132:133], s[4:5], v[4:5]
	;; [unrolled: 8-line block ×6, first 2 shown]
	v_add_f64 v[4:5], v[4:5], v[0:1]
	v_fma_f64 v[0:1], v[181:182], s[8:9], -v[158:159]
	v_add_f64 v[6:7], v[0:1], v[2:3]
	v_fma_f64 v[0:1], v[104:105], s[20:21], v[164:165]
	v_fma_f64 v[2:3], v[114:115], s[22:23], v[166:167]
	buffer_store_dword v4, off, s[64:67], 0 offset:56 ; 4-byte Folded Spill
	s_nop 0
	buffer_store_dword v5, off, s[64:67], 0 offset:60 ; 4-byte Folded Spill
	buffer_store_dword v6, off, s[64:67], 0 offset:64 ; 4-byte Folded Spill
	;; [unrolled: 1-line block ×3, first 2 shown]
	v_add_f64 v[0:1], v[28:29], v[0:1]
	v_fma_f64 v[4:5], v[116:117], s[22:23], -v[195:196]
	v_add_f64 v[0:1], v[2:3], v[0:1]
	v_fma_f64 v[2:3], v[106:107], s[20:21], -v[193:194]
	v_add_f64 v[2:3], v[30:31], v[2:3]
	v_add_f64 v[2:3], v[4:5], v[2:3]
	v_fma_f64 v[4:5], v[120:121], s[8:9], v[172:173]
	v_add_f64 v[0:1], v[4:5], v[0:1]
	v_fma_f64 v[4:5], v[122:123], s[8:9], -v[199:200]
	v_add_f64 v[2:3], v[4:5], v[2:3]
	v_fma_f64 v[4:5], v[132:133], s[10:11], v[168:169]
	v_add_f64 v[0:1], v[4:5], v[0:1]
	v_fma_f64 v[4:5], v[136:137], s[10:11], -v[197:198]
	;; [unrolled: 4-line block ×6, first 2 shown]
	v_add_f64 v[6:7], v[0:1], v[2:3]
	v_fma_f64 v[0:1], v[104:105], s[26:27], v[211:212]
	v_fma_f64 v[2:3], v[114:115], s[20:21], v[213:214]
	buffer_store_dword v4, off, s[64:67], 0 offset:72 ; 4-byte Folded Spill
	s_nop 0
	buffer_store_dword v5, off, s[64:67], 0 offset:76 ; 4-byte Folded Spill
	buffer_store_dword v6, off, s[64:67], 0 offset:80 ; 4-byte Folded Spill
	;; [unrolled: 1-line block ×3, first 2 shown]
	v_add_f64 v[0:1], v[28:29], v[0:1]
	v_fma_f64 v[4:5], v[116:117], s[20:21], -v[235:236]
	v_add_f64 v[0:1], v[2:3], v[0:1]
	v_fma_f64 v[2:3], v[106:107], s[26:27], -v[233:234]
	v_add_f64 v[2:3], v[30:31], v[2:3]
	v_add_f64 v[2:3], v[4:5], v[2:3]
	v_fma_f64 v[4:5], v[120:121], s[4:5], v[219:220]
	v_add_f64 v[0:1], v[4:5], v[0:1]
	v_fma_f64 v[4:5], v[122:123], s[4:5], -v[241:242]
	v_add_f64 v[2:3], v[4:5], v[2:3]
	v_fma_f64 v[4:5], v[132:133], s[22:23], v[217:218]
	v_add_f64 v[0:1], v[4:5], v[0:1]
	v_fma_f64 v[4:5], v[136:137], s[22:23], -v[239:240]
	;; [unrolled: 4-line block ×5, first 2 shown]
	v_add_f64 v[2:3], v[4:5], v[2:3]
	v_fma_f64 v[4:5], v[179:180], s[10:11], v[229:230]
	v_add_f64 v[6:7], v[4:5], v[0:1]
	v_mul_f64 v[0:1], v[112:113], s[50:51]
	v_fma_f64 v[4:5], v[181:182], s[10:11], -v[0:1]
	v_add_f64 v[8:9], v[4:5], v[2:3]
	v_mul_f64 v[2:3], v[142:143], s[42:43]
	buffer_store_dword v6, off, s[64:67], 0 offset:88 ; 4-byte Folded Spill
	s_nop 0
	buffer_store_dword v7, off, s[64:67], 0 offset:92 ; 4-byte Folded Spill
	buffer_store_dword v8, off, s[64:67], 0 offset:96 ; 4-byte Folded Spill
	;; [unrolled: 1-line block ×3, first 2 shown]
	v_fma_f64 v[4:5], v[104:105], s[22:23], v[2:3]
	v_add_f64 v[6:7], v[28:29], v[4:5]
	v_mul_f64 v[4:5], v[170:171], s[50:51]
	v_fma_f64 v[8:9], v[114:115], s[10:11], v[4:5]
	v_add_f64 v[6:7], v[8:9], v[6:7]
	v_fma_f64 v[8:9], v[106:107], s[22:23], -v[14:15]
	v_add_f64 v[8:9], v[30:31], v[8:9]
	v_add_f64 v[10:11], v[10:11], v[8:9]
	v_mul_f64 v[8:9], v[185:186], s[30:31]
	v_fma_f64 v[12:13], v[120:121], s[16:17], v[8:9]
	v_add_f64 v[12:13], v[12:13], v[6:7]
	v_fma_f64 v[6:7], v[122:123], s[16:17], -v[18:19]
	v_add_f64 v[10:11], v[6:7], v[10:11]
	v_mul_f64 v[6:7], v[187:188], s[58:59]
	v_fma_f64 v[16:17], v[132:133], s[26:27], v[6:7]
	v_add_f64 v[12:13], v[16:17], v[12:13]
	v_mul_f64 v[16:17], v[201:202], s[58:59]
	v_fma_f64 v[20:21], v[136:137], s[26:27], -v[16:17]
	v_add_f64 v[20:21], v[20:21], v[10:11]
	v_mul_f64 v[10:11], v[215:216], s[18:19]
	v_fma_f64 v[22:23], v[144:145], s[4:5], v[10:11]
	v_add_f64 v[12:13], v[22:23], v[12:13]
	v_fma_f64 v[22:23], v[146:147], s[4:5], -v[100:101]
	v_add_f64 v[20:21], v[22:23], v[20:21]
	v_fma_f64 v[22:23], v[148:149], s[34:35], v[96:97]
	v_add_f64 v[12:13], v[22:23], v[12:13]
	v_fma_f64 v[22:23], v[150:151], s[34:35], -v[102:103]
	v_add_f64 v[22:23], v[22:23], v[20:21]
	v_fma_f64 v[20:21], v[160:161], s[8:9], v[253:254]
	v_add_f64 v[24:25], v[20:21], v[12:13]
	v_mul_f64 v[20:21], v[249:250], s[52:53]
	v_fma_f64 v[12:13], v[162:163], s[8:9], -v[20:21]
	v_add_f64 v[26:27], v[12:13], v[22:23]
	v_mul_f64 v[12:13], v[126:127], s[38:39]
	v_fma_f64 v[22:23], v[179:180], s[20:21], v[12:13]
	v_add_f64 v[24:25], v[22:23], v[24:25]
	v_mul_f64 v[22:23], v[112:113], s[38:39]
	v_fma_f64 v[108:109], v[181:182], s[20:21], -v[22:23]
	v_add_f64 v[26:27], v[108:109], v[26:27]
	buffer_store_dword v24, off, s[64:67], 0 offset:104 ; 4-byte Folded Spill
	s_nop 0
	buffer_store_dword v25, off, s[64:67], 0 offset:108 ; 4-byte Folded Spill
	buffer_store_dword v26, off, s[64:67], 0 offset:112 ; 4-byte Folded Spill
	;; [unrolled: 1-line block ×3, first 2 shown]
	v_mul_lo_u16_e32 v24, 17, v178
	s_waitcnt vmcnt(0)
	s_barrier
	buffer_store_dword v24, off, s[64:67], 0 offset:120 ; 4-byte Folded Spill
	s_and_saveexec_b64 s[36:37], s[0:1]
	s_cbranch_execz .LBB0_7
; %bb.6:
	v_add_f64 v[84:85], v[28:29], v[84:85]
	v_add_f64 v[86:87], v[30:31], v[86:87]
	v_mul_f64 v[108:109], v[142:143], s[44:45]
	v_mul_f64 v[142:143], v[170:171], s[54:55]
	buffer_store_dword v110, off, s[64:67], 0 offset:652 ; 4-byte Folded Spill
	s_nop 0
	buffer_store_dword v111, off, s[64:67], 0 offset:656 ; 4-byte Folded Spill
	v_mul_f64 v[26:27], v[187:188], s[52:53]
	v_mul_f64 v[187:188], v[146:147], s[26:27]
	;; [unrolled: 1-line block ×3, first 2 shown]
	v_add_f64 v[84:85], v[84:85], v[88:89]
	v_mul_f64 v[88:89], v[106:107], s[34:35]
	v_add_f64 v[86:87], v[86:87], v[90:91]
	v_mul_f64 v[90:91], v[116:117], s[4:5]
	v_fma_f64 v[170:171], v[114:115], s[4:5], v[142:143]
	buffer_store_dword v118, off, s[64:67], 0 offset:668 ; 4-byte Folded Spill
	s_nop 0
	buffer_store_dword v119, off, s[64:67], 0 offset:672 ; 4-byte Folded Spill
	v_mul_f64 v[118:119], v[150:151], s[10:11]
	v_mul_f64 v[237:238], v[237:238], s[50:51]
	v_add_f64 v[92:93], v[84:85], v[92:93]
	v_fma_f64 v[84:85], v[134:135], s[56:57], v[88:89]
	v_add_f64 v[94:95], v[86:87], v[94:95]
	v_fma_f64 v[86:87], v[156:157], s[18:19], v[90:91]
	buffer_store_dword v124, off, s[64:67], 0 offset:660 ; 4-byte Folded Spill
	s_nop 0
	buffer_store_dword v125, off, s[64:67], 0 offset:664 ; 4-byte Folded Spill
	v_mul_f64 v[124:125], v[162:163], s[20:21]
	v_mul_f64 v[251:252], v[251:252], s[38:39]
	buffer_store_dword v128, off, s[64:67], 0 offset:676 ; 4-byte Folded Spill
	s_nop 0
	buffer_store_dword v129, off, s[64:67], 0 offset:680 ; 4-byte Folded Spill
	v_mul_f64 v[128:129], v[181:182], s[16:17]
	v_add_f64 v[84:85], v[30:31], v[84:85]
	v_mul_f64 v[126:127], v[126:127], s[60:61]
	v_fma_f64 v[90:91], v[156:157], s[54:55], v[90:91]
	v_add_f64 v[84:85], v[86:87], v[84:85]
	v_fma_f64 v[86:87], v[104:105], s[34:35], v[108:109]
	v_add_f64 v[86:87], v[28:29], v[86:87]
	v_add_f64 v[86:87], v[170:171], v[86:87]
	v_mul_f64 v[170:171], v[122:123], s[22:23]
	v_fma_f64 v[110:111], v[174:175], s[46:47], v[170:171]
	v_add_f64 v[84:85], v[110:111], v[84:85]
	v_mul_f64 v[110:111], v[185:186], s[42:43]
	v_fma_f64 v[185:186], v[120:121], s[22:23], v[110:111]
	;; [unrolled: 3-line block ×3, first 2 shown]
	v_add_f64 v[24:25], v[24:25], v[84:85]
	v_fma_f64 v[84:85], v[132:133], s[8:9], v[26:27]
	v_fma_f64 v[26:27], v[132:133], s[8:9], -v[26:27]
	v_add_f64 v[84:85], v[84:85], v[86:87]
	v_fma_f64 v[86:87], v[221:222], s[58:59], v[187:188]
	v_add_f64 v[24:25], v[86:87], v[24:25]
	v_fma_f64 v[86:87], v[144:145], s[26:27], v[215:216]
	;; [unrolled: 2-line block ×9, first 2 shown]
	v_fma_f64 v[88:89], v[174:175], s[42:43], v[170:171]
	v_add_f64 v[24:25], v[30:31], v[24:25]
	v_add_f64 v[24:25], v[90:91], v[24:25]
	v_fma_f64 v[90:91], v[201:202], s[52:53], v[185:186]
	v_add_f64 v[24:25], v[88:89], v[24:25]
	v_fma_f64 v[88:89], v[221:222], s[40:41], v[187:188]
	;; [unrolled: 2-line block ×4, first 2 shown]
	v_fma_f64 v[112:113], v[249:250], s[38:39], v[124:125]
	v_add_f64 v[24:25], v[90:91], v[24:25]
	v_fma_f64 v[90:91], v[104:105], s[34:35], -v[108:109]
	v_fma_f64 v[108:109], v[114:115], s[4:5], -v[142:143]
	v_add_f64 v[24:25], v[112:113], v[24:25]
	v_add_f64 v[90:91], v[28:29], v[90:91]
	v_mul_f64 v[112:113], v[116:117], s[16:17]
	v_add_f64 v[90:91], v[108:109], v[90:91]
	v_fma_f64 v[108:109], v[120:121], s[22:23], -v[110:111]
	v_add_f64 v[90:91], v[108:109], v[90:91]
	v_fma_f64 v[108:109], v[179:180], s[16:17], -v[126:127]
	v_add_f64 v[26:27], v[26:27], v[90:91]
	v_fma_f64 v[90:91], v[144:145], s[26:27], -v[215:216]
	v_add_f64 v[26:27], v[90:91], v[26:27]
	v_fma_f64 v[90:91], v[148:149], s[10:11], -v[237:238]
	v_add_f64 v[26:27], v[90:91], v[26:27]
	v_fma_f64 v[90:91], v[160:161], s[20:21], -v[251:252]
	v_add_f64 v[26:27], v[90:91], v[26:27]
	v_add_f64 v[90:91], v[88:89], v[24:25]
	;; [unrolled: 1-line block ×5, first 2 shown]
	v_mul_f64 v[80:81], v[122:123], s[16:17]
	v_add_f64 v[18:19], v[18:19], v[80:81]
	v_mul_f64 v[80:81], v[106:107], s[22:23]
	v_add_f64 v[14:15], v[14:15], v[80:81]
	;; [unrolled: 2-line block ×3, first 2 shown]
	v_add_f64 v[80:81], v[98:99], v[80:81]
	v_add_f64 v[14:15], v[80:81], v[14:15]
	v_mul_f64 v[80:81], v[136:137], s[26:27]
	v_add_f64 v[14:15], v[18:19], v[14:15]
	v_add_f64 v[16:17], v[16:17], v[80:81]
	v_mul_f64 v[18:19], v[146:147], s[4:5]
	;; [unrolled: 3-line block ×4, first 2 shown]
	v_mul_f64 v[102:103], v[106:107], s[8:9]
	v_add_f64 v[14:15], v[16:17], v[14:15]
	v_add_f64 v[18:19], v[20:21], v[18:19]
	v_mul_f64 v[16:17], v[181:182], s[20:21]
	v_mul_f64 v[20:21], v[114:115], s[22:23]
	v_add_f64 v[14:15], v[18:19], v[14:15]
	v_mul_f64 v[18:19], v[120:121], s[16:17]
	v_add_f64 v[16:17], v[22:23], v[16:17]
	v_add_f64 v[20:21], v[20:21], -v[166:167]
	v_add_f64 v[8:9], v[18:19], -v[8:9]
	v_mul_f64 v[18:19], v[104:105], s[22:23]
	v_add_f64 v[2:3], v[18:19], -v[2:3]
	v_mul_f64 v[18:19], v[114:115], s[10:11]
	v_add_f64 v[2:3], v[28:29], v[2:3]
	v_add_f64 v[4:5], v[18:19], -v[4:5]
	v_mul_f64 v[18:19], v[104:105], s[20:21]
	v_add_f64 v[2:3], v[4:5], v[2:3]
	v_mul_f64 v[4:5], v[132:133], s[26:27]
	v_add_f64 v[18:19], v[18:19], -v[164:165]
	v_add_f64 v[2:3], v[8:9], v[2:3]
	v_add_f64 v[4:5], v[4:5], -v[6:7]
	v_mul_f64 v[6:7], v[144:145], s[4:5]
	v_add_f64 v[18:19], v[28:29], v[18:19]
	v_add_f64 v[2:3], v[4:5], v[2:3]
	v_add_f64 v[6:7], v[6:7], -v[10:11]
	v_mul_f64 v[4:5], v[148:149], s[34:35]
	v_add_f64 v[18:19], v[20:21], v[18:19]
	v_mul_f64 v[20:21], v[132:133], s[10:11]
	v_add_f64 v[10:11], v[26:27], v[76:77]
	v_add_f64 v[2:3], v[6:7], v[2:3]
	v_add_f64 v[4:5], v[4:5], -v[96:97]
	v_mul_f64 v[6:7], v[160:161], s[8:9]
	v_add_f64 v[20:21], v[20:21], -v[168:169]
	v_add_f64 v[10:11], v[10:11], v[40:41]
	v_add_f64 v[2:3], v[4:5], v[2:3]
	v_mul_f64 v[4:5], v[179:180], s[20:21]
	v_add_f64 v[6:7], v[6:7], -v[253:254]
	v_add_f64 v[10:11], v[10:11], v[32:33]
	v_add_f64 v[8:9], v[4:5], -v[12:13]
	v_mul_f64 v[12:13], v[106:107], s[26:27]
	v_add_f64 v[2:3], v[6:7], v[2:3]
	v_add_f64 v[4:5], v[16:17], v[14:15]
	v_mul_f64 v[14:15], v[116:117], s[20:21]
	v_mul_f64 v[16:17], v[114:115], s[20:21]
	v_add_f64 v[6:7], v[24:25], v[78:79]
	v_add_f64 v[10:11], v[10:11], v[36:37]
	;; [unrolled: 1-line block ×4, first 2 shown]
	v_mul_f64 v[8:9], v[122:123], s[4:5]
	v_add_f64 v[14:15], v[235:236], v[14:15]
	v_add_f64 v[16:17], v[16:17], -v[213:214]
	v_add_f64 v[6:7], v[6:7], v[42:43]
	v_add_f64 v[10:11], v[10:11], v[44:45]
	;; [unrolled: 1-line block ×7, first 2 shown]
	v_mul_f64 v[14:15], v[136:137], s[22:23]
	v_add_f64 v[6:7], v[6:7], v[38:39]
	v_add_f64 v[10:11], v[10:11], v[52:53]
	v_add_f64 v[8:9], v[8:9], v[12:13]
	v_add_f64 v[14:15], v[239:240], v[14:15]
	v_mul_f64 v[12:13], v[146:147], s[16:17]
	v_add_f64 v[6:7], v[6:7], v[46:47]
	v_add_f64 v[10:11], v[10:11], v[56:57]
	v_add_f64 v[8:9], v[14:15], v[8:9]
	v_add_f64 v[12:13], v[243:244], v[12:13]
	;; [unrolled: 5-line block ×3, first 2 shown]
	v_mul_f64 v[12:13], v[162:163], s[34:35]
	v_add_f64 v[6:7], v[6:7], v[54:55]
	v_add_f64 v[10:11], v[10:11], v[64:65]
	;; [unrolled: 1-line block ×3, first 2 shown]
	v_mul_f64 v[14:15], v[181:182], s[10:11]
	v_add_f64 v[12:13], v[247:248], v[12:13]
	v_add_f64 v[6:7], v[6:7], v[58:59]
	v_add_f64 v[10:11], v[10:11], v[68:69]
	v_add_f64 v[0:1], v[0:1], v[14:15]
	v_mul_f64 v[14:15], v[104:105], s[26:27]
	v_add_f64 v[8:9], v[12:13], v[8:9]
	v_mul_f64 v[12:13], v[120:121], s[4:5]
	v_add_f64 v[6:7], v[6:7], v[62:63]
	v_add_f64 v[14:15], v[14:15], -v[211:212]
	v_add_f64 v[8:9], v[0:1], v[8:9]
	v_add_f64 v[12:13], v[12:13], -v[219:220]
	v_add_f64 v[6:7], v[6:7], v[66:67]
	v_add_f64 v[14:15], v[28:29], v[14:15]
	;; [unrolled: 1-line block ×4, first 2 shown]
	v_mul_f64 v[16:17], v[132:133], s[22:23]
	v_add_f64 v[12:13], v[12:13], v[14:15]
	v_add_f64 v[16:17], v[16:17], -v[217:218]
	v_mul_f64 v[14:15], v[144:145], s[16:17]
	v_add_f64 v[12:13], v[16:17], v[12:13]
	v_add_f64 v[14:15], v[14:15], -v[223:224]
	;; [unrolled: 3-line block ×4, first 2 shown]
	v_mul_f64 v[16:17], v[179:180], s[10:11]
	v_add_f64 v[24:25], v[14:15], v[12:13]
	v_mul_f64 v[14:15], v[106:107], s[20:21]
	v_add_f64 v[22:23], v[16:17], -v[229:230]
	v_mul_f64 v[16:17], v[116:117], s[22:23]
	v_mul_f64 v[12:13], v[122:123], s[8:9]
	v_add_f64 v[14:15], v[193:194], v[14:15]
	v_add_f64 v[16:17], v[195:196], v[16:17]
	v_add_f64 v[12:13], v[199:200], v[12:13]
	v_add_f64 v[14:15], v[30:31], v[14:15]
	v_add_f64 v[14:15], v[16:17], v[14:15]
	v_mul_f64 v[16:17], v[136:137], s[10:11]
	v_add_f64 v[12:13], v[12:13], v[14:15]
	v_add_f64 v[16:17], v[197:198], v[16:17]
	v_mul_f64 v[14:15], v[146:147], s[34:35]
	v_add_f64 v[12:13], v[16:17], v[12:13]
	v_add_f64 v[14:15], v[203:204], v[14:15]
	v_mul_f64 v[16:17], v[150:151], s[16:17]
	v_add_f64 v[12:13], v[14:15], v[12:13]
	v_add_f64 v[16:17], v[205:206], v[16:17]
	v_mul_f64 v[14:15], v[162:163], s[4:5]
	v_add_f64 v[12:13], v[16:17], v[12:13]
	v_add_f64 v[14:15], v[207:208], v[14:15]
	v_mul_f64 v[16:17], v[181:182], s[26:27]
	v_add_f64 v[12:13], v[14:15], v[12:13]
	v_mul_f64 v[14:15], v[120:121], s[8:9]
	v_add_f64 v[16:17], v[209:210], v[16:17]
	v_add_f64 v[14:15], v[14:15], -v[172:173]
	v_add_f64 v[12:13], v[16:17], v[12:13]
	v_add_f64 v[14:15], v[14:15], v[18:19]
	v_mul_f64 v[18:19], v[144:145], s[34:35]
	v_add_f64 v[14:15], v[20:21], v[14:15]
	v_add_f64 v[18:19], v[18:19], -v[176:177]
	v_mul_f64 v[20:21], v[148:149], s[16:17]
	v_add_f64 v[14:15], v[18:19], v[14:15]
	v_add_f64 v[20:21], v[20:21], -v[183:184]
	v_mul_f64 v[18:19], v[160:161], s[4:5]
	v_add_f64 v[14:15], v[20:21], v[14:15]
	v_mul_f64 v[20:21], v[179:180], s[26:27]
	v_add_f64 v[18:19], v[18:19], -v[189:190]
	v_add_f64 v[26:27], v[20:21], -v[191:192]
	buffer_load_dword v20, off, s[64:67], 0 offset:628 ; 4-byte Folded Reload
	buffer_load_dword v21, off, s[64:67], 0 offset:632 ; 4-byte Folded Reload
	;; [unrolled: 1-line block ×4, first 2 shown]
	v_add_f64 v[76:77], v[18:19], v[14:15]
	v_mul_f64 v[18:19], v[106:107], s[16:17]
	v_mul_f64 v[14:15], v[122:123], s[20:21]
	v_add_f64 v[14:15], v[138:139], v[14:15]
	v_mul_f64 v[138:139], v[144:145], s[22:23]
	s_waitcnt vmcnt(2)
	v_add_f64 v[18:19], v[20:21], v[18:19]
	v_mul_f64 v[20:21], v[116:117], s[34:35]
	v_add_f64 v[18:19], v[30:31], v[18:19]
	s_waitcnt vmcnt(0)
	v_add_f64 v[20:21], v[78:79], v[20:21]
	buffer_load_dword v78, off, s[64:67], 0 offset:644 ; 4-byte Folded Reload
	buffer_load_dword v79, off, s[64:67], 0 offset:648 ; 4-byte Folded Reload
	;; [unrolled: 1-line block ×8, first 2 shown]
	v_add_f64 v[18:19], v[20:21], v[18:19]
	v_mul_f64 v[20:21], v[136:137], s[4:5]
	v_add_f64 v[14:15], v[14:15], v[18:19]
	v_add_f64 v[20:21], v[130:131], v[20:21]
	v_mul_f64 v[18:19], v[146:147], s[10:11]
	v_mul_f64 v[130:131], v[132:133], s[34:35]
	v_add_f64 v[14:15], v[20:21], v[14:15]
	v_add_f64 v[18:19], v[140:141], v[18:19]
	v_mul_f64 v[20:21], v[150:151], s[22:23]
	;; [unrolled: 4-line block ×4, first 2 shown]
	v_add_f64 v[14:15], v[18:19], v[14:15]
	v_mul_f64 v[18:19], v[148:149], s[22:23]
	v_add_f64 v[20:21], v[158:159], v[20:21]
	v_mul_f64 v[158:159], v[181:182], s[22:23]
	v_add_f64 v[16:17], v[20:21], v[14:15]
	s_waitcnt vmcnt(6)
	v_add_f64 v[18:19], v[18:19], -v[78:79]
	v_mul_f64 v[78:79], v[120:121], s[20:21]
	s_waitcnt vmcnt(4)
	v_add_f64 v[78:79], v[78:79], -v[80:81]
	v_mul_f64 v[80:81], v[104:105], s[16:17]
	;; [unrolled: 3-line block ×3, first 2 shown]
	v_add_f64 v[80:81], v[28:29], v[80:81]
	s_waitcnt vmcnt(0)
	v_add_f64 v[82:83], v[82:83], -v[92:93]
	buffer_load_dword v92, off, s[64:67], 0 offset:604 ; 4-byte Folded Reload
	buffer_load_dword v93, off, s[64:67], 0 offset:608 ; 4-byte Folded Reload
	v_add_f64 v[80:81], v[82:83], v[80:81]
	v_mul_f64 v[82:83], v[132:133], s[4:5]
	v_add_f64 v[78:79], v[78:79], v[80:81]
	v_mul_f64 v[80:81], v[144:145], s[10:11]
	s_waitcnt vmcnt(0)
	v_add_f64 v[82:83], v[82:83], -v[92:93]
	buffer_load_dword v92, off, s[64:67], 0 offset:620 ; 4-byte Folded Reload
	buffer_load_dword v93, off, s[64:67], 0 offset:624 ; 4-byte Folded Reload
	v_add_f64 v[78:79], v[82:83], v[78:79]
	v_mul_f64 v[82:83], v[122:123], s[34:35]
	s_waitcnt vmcnt(0)
	v_add_f64 v[80:81], v[80:81], -v[92:93]
	buffer_load_dword v92, off, s[64:67], 0 offset:532 ; 4-byte Folded Reload
	buffer_load_dword v93, off, s[64:67], 0 offset:536 ; 4-byte Folded Reload
	buffer_load_dword v94, off, s[64:67], 0 offset:516 ; 4-byte Folded Reload
	buffer_load_dword v95, off, s[64:67], 0 offset:520 ; 4-byte Folded Reload
	buffer_load_dword v96, off, s[64:67], 0 offset:524 ; 4-byte Folded Reload
	buffer_load_dword v97, off, s[64:67], 0 offset:528 ; 4-byte Folded Reload
	v_add_f64 v[78:79], v[80:81], v[78:79]
	v_mul_f64 v[80:81], v[104:105], s[4:5]
	v_add_f64 v[18:19], v[18:19], v[78:79]
	v_mul_f64 v[78:79], v[104:105], s[8:9]
	v_mul_f64 v[104:105], v[104:105], s[10:11]
	s_waitcnt vmcnt(4)
	v_add_f64 v[82:83], v[92:93], v[82:83]
	v_mul_f64 v[92:93], v[106:107], s[10:11]
	s_waitcnt vmcnt(2)
	v_add_f64 v[92:93], v[94:95], v[92:93]
	v_mul_f64 v[94:95], v[116:117], s[26:27]
	v_add_f64 v[92:93], v[30:31], v[92:93]
	s_waitcnt vmcnt(0)
	v_add_f64 v[94:95], v[96:97], v[94:95]
	buffer_load_dword v96, off, s[64:67], 0 offset:540 ; 4-byte Folded Reload
	buffer_load_dword v97, off, s[64:67], 0 offset:544 ; 4-byte Folded Reload
	;; [unrolled: 1-line block ×6, first 2 shown]
	v_add_f64 v[92:93], v[94:95], v[92:93]
	v_mul_f64 v[94:95], v[136:137], s[20:21]
	v_add_f64 v[82:83], v[82:83], v[92:93]
	v_mul_f64 v[92:93], v[146:147], s[8:9]
	s_waitcnt vmcnt(4)
	v_add_f64 v[94:95], v[96:97], v[94:95]
	v_mul_f64 v[96:97], v[160:161], s[26:27]
	s_waitcnt vmcnt(0)
	v_add_f64 v[92:93], v[100:101], v[92:93]
	v_mul_f64 v[100:101], v[106:107], s[4:5]
	buffer_load_dword v106, off, s[64:67], 0 offset:556 ; 4-byte Folded Reload
	buffer_load_dword v107, off, s[64:67], 0 offset:560 ; 4-byte Folded Reload
	;; [unrolled: 1-line block ×6, first 2 shown]
	v_add_f64 v[82:83], v[94:95], v[82:83]
	v_add_f64 v[96:97], v[96:97], -v[98:99]
	v_mul_f64 v[98:99], v[150:151], s[4:5]
	v_mul_f64 v[94:95], v[179:180], s[8:9]
	v_add_f64 v[82:83], v[92:93], v[82:83]
	v_mul_f64 v[92:93], v[114:115], s[8:9]
	v_add_f64 v[96:97], v[96:97], v[18:19]
	v_mul_f64 v[18:19], v[132:133], s[20:21]
	s_waitcnt vmcnt(4)
	v_add_f64 v[98:99], v[106:107], v[98:99]
	v_mul_f64 v[106:107], v[162:163], s[16:17]
	s_waitcnt vmcnt(2)
	v_add_f64 v[94:95], v[94:95], -v[108:109]
	v_mul_f64 v[108:109], v[144:145], s[8:9]
	v_add_f64 v[82:83], v[98:99], v[82:83]
	s_waitcnt vmcnt(0)
	v_add_f64 v[106:107], v[110:111], v[106:107]
	v_mul_f64 v[110:111], v[116:117], s[8:9]
	buffer_load_dword v116, off, s[64:67], 0 offset:508 ; 4-byte Folded Reload
	buffer_load_dword v117, off, s[64:67], 0 offset:512 ; 4-byte Folded Reload
	;; [unrolled: 1-line block ×10, first 2 shown]
	v_mul_f64 v[98:99], v[114:115], s[16:17]
	v_mul_f64 v[114:115], v[114:115], s[26:27]
	buffer_load_dword v134, off, s[64:67], 0 offset:492 ; 4-byte Folded Reload
	buffer_load_dword v135, off, s[64:67], 0 offset:496 ; 4-byte Folded Reload
	v_add_f64 v[40:41], v[106:107], v[82:83]
	s_waitcnt vmcnt(10)
	v_add_f64 v[108:109], v[108:109], -v[116:117]
	v_mul_f64 v[116:117], v[120:121], s[10:11]
	s_waitcnt vmcnt(6)
	v_add_f64 v[104:105], v[104:105], -v[124:125]
	s_waitcnt vmcnt(4)
	v_add_f64 v[114:115], v[114:115], -v[126:127]
	v_mul_f64 v[126:127], v[132:133], s[16:17]
	s_waitcnt vmcnt(2)
	v_add_f64 v[102:103], v[128:129], v[102:103]
	v_mul_f64 v[128:129], v[136:137], s[16:17]
	v_mul_f64 v[132:133], v[136:137], s[34:35]
	buffer_load_dword v136, off, s[64:67], 0 offset:404 ; 4-byte Folded Reload
	buffer_load_dword v137, off, s[64:67], 0 offset:408 ; 4-byte Folded Reload
	;; [unrolled: 1-line block ×4, first 2 shown]
	v_add_f64 v[104:105], v[28:29], v[104:105]
	v_mul_f64 v[124:125], v[120:121], s[26:27]
	v_mul_f64 v[120:121], v[120:121], s[34:35]
	v_add_f64 v[102:103], v[30:31], v[102:103]
	v_add_f64 v[18:19], v[18:19], -v[118:119]
	v_mul_f64 v[118:119], v[122:123], s[10:11]
	v_mul_f64 v[122:123], v[122:123], s[26:27]
	v_add_f64 v[104:105], v[114:115], v[104:105]
	v_mul_f64 v[114:115], v[148:149], s[26:27]
	s_waitcnt vmcnt(4)
	v_add_f64 v[120:121], v[120:121], -v[134:135]
	v_mul_f64 v[134:135], v[144:145], s[20:21]
	v_mul_f64 v[144:145], v[150:151], s[20:21]
	v_add_f64 v[104:105], v[120:121], v[104:105]
	v_mul_f64 v[120:121], v[160:161], s[22:23]
	v_add_f64 v[18:19], v[18:19], v[104:105]
	v_mul_f64 v[104:105], v[179:180], s[34:35]
	v_add_f64 v[18:19], v[108:109], v[18:19]
	s_waitcnt vmcnt(2)
	v_add_f64 v[112:113], v[136:137], v[112:113]
	v_mul_f64 v[136:137], v[146:147], s[20:21]
	v_mul_f64 v[146:147], v[148:149], s[4:5]
	s_waitcnt vmcnt(0)
	v_add_f64 v[122:123], v[142:143], v[122:123]
	v_mul_f64 v[142:143], v[150:151], s[26:27]
	v_mul_f64 v[150:151], v[162:163], s[10:11]
	v_add_f64 v[102:103], v[112:113], v[102:103]
	v_mul_f64 v[112:113], v[148:149], s[20:21]
	buffer_load_dword v148, off, s[64:67], 0 offset:388 ; 4-byte Folded Reload
	buffer_load_dword v149, off, s[64:67], 0 offset:392 ; 4-byte Folded Reload
	;; [unrolled: 1-line block ×14, first 2 shown]
	v_add_f64 v[102:103], v[122:123], v[102:103]
	v_mul_f64 v[122:123], v[160:161], s[10:11]
	v_mul_f64 v[160:161], v[179:180], s[22:23]
	s_waitcnt vmcnt(12)
	v_add_f64 v[132:133], v[148:149], v[132:133]
	s_waitcnt vmcnt(10)
	v_add_f64 v[140:141], v[154:155], v[140:141]
	;; [unrolled: 2-line block ×3, first 2 shown]
	v_mul_f64 v[156:157], v[181:182], s[4:5]
	s_waitcnt vmcnt(4)
	v_add_f64 v[20:21], v[146:147], -v[20:21]
	s_waitcnt vmcnt(2)
	v_add_f64 v[42:43], v[42:43], v[150:151]
	s_waitcnt vmcnt(0)
	v_add_f64 v[82:83], v[160:161], -v[32:33]
	buffer_load_dword v32, off, s[64:67], 0 offset:452 ; 4-byte Folded Reload
	buffer_load_dword v33, off, s[64:67], 0 offset:456 ; 4-byte Folded Reload
	v_add_f64 v[102:103], v[132:133], v[102:103]
	v_mul_f64 v[148:149], v[162:163], s[22:23]
	v_mul_f64 v[132:133], v[179:180], s[4:5]
	v_mul_f64 v[154:155], v[181:182], s[34:35]
	v_add_f64 v[18:19], v[20:21], v[18:19]
	buffer_load_dword v20, off, s[64:67], 0 offset:436 ; 4-byte Folded Reload
	buffer_load_dword v21, off, s[64:67], 0 offset:440 ; 4-byte Folded Reload
	v_add_f64 v[14:15], v[14:15], v[158:159]
	v_add_f64 v[0:1], v[140:141], v[102:103]
	;; [unrolled: 1-line block ×4, first 2 shown]
	s_waitcnt vmcnt(2)
	v_add_f64 v[32:33], v[152:153], -v[32:33]
	s_waitcnt vmcnt(0)
	v_add_f64 v[34:35], v[20:21], v[156:157]
	buffer_load_dword v20, off, s[64:67], 0 offset:668 ; 4-byte Folded Reload
	buffer_load_dword v21, off, s[64:67], 0 offset:672 ; 4-byte Folded Reload
	;; [unrolled: 1-line block ×8, first 2 shown]
	v_add_f64 v[18:19], v[32:33], v[18:19]
	v_add_f64 v[18:19], v[82:83], v[18:19]
	s_waitcnt vmcnt(6)
	v_add_f64 v[20:21], v[20:21], v[100:101]
	s_waitcnt vmcnt(4)
	v_add_f64 v[36:37], v[80:81], -v[36:37]
	s_waitcnt vmcnt(2)
	v_add_f64 v[38:39], v[78:79], -v[38:39]
	buffer_load_dword v78, off, s[64:67], 0 offset:676 ; 4-byte Folded Reload
	buffer_load_dword v79, off, s[64:67], 0 offset:680 ; 4-byte Folded Reload
	s_waitcnt vmcnt(2)
	v_add_f64 v[42:43], v[98:99], -v[42:43]
	v_add_f64 v[20:21], v[30:31], v[20:21]
	buffer_load_dword v30, off, s[64:67], 0 offset:660 ; 4-byte Folded Reload
	buffer_load_dword v31, off, s[64:67], 0 offset:664 ; 4-byte Folded Reload
	v_add_f64 v[36:37], v[28:29], v[36:37]
	v_add_f64 v[28:29], v[28:29], v[38:39]
	buffer_load_dword v38, off, s[64:67], 0 offset:332 ; 4-byte Folded Reload
	buffer_load_dword v39, off, s[64:67], 0 offset:336 ; 4-byte Folded Reload
	;; [unrolled: 1-line block ×6, first 2 shown]
	v_add_f64 v[28:29], v[42:43], v[28:29]
	s_waitcnt vmcnt(8)
	v_add_f64 v[78:79], v[78:79], v[110:111]
	s_waitcnt vmcnt(6)
	v_add_f64 v[30:31], v[92:93], -v[30:31]
	v_add_f64 v[20:21], v[78:79], v[20:21]
	s_waitcnt vmcnt(4)
	v_add_f64 v[38:39], v[124:125], -v[38:39]
	s_waitcnt vmcnt(2)
	v_add_f64 v[44:45], v[44:45], v[118:119]
	s_waitcnt vmcnt(0)
	v_add_f64 v[46:47], v[116:117], -v[46:47]
	v_add_f64 v[30:31], v[30:31], v[36:37]
	buffer_load_dword v36, off, s[64:67], 0 offset:340 ; 4-byte Folded Reload
	buffer_load_dword v37, off, s[64:67], 0 offset:344 ; 4-byte Folded Reload
	;; [unrolled: 1-line block ×4, first 2 shown]
	v_add_f64 v[28:29], v[38:39], v[28:29]
	v_add_f64 v[20:21], v[44:45], v[20:21]
	buffer_load_dword v44, off, s[64:67], 0 offset:156 ; 4-byte Folded Reload
	buffer_load_dword v45, off, s[64:67], 0 offset:160 ; 4-byte Folded Reload
	;; [unrolled: 1-line block ×4, first 2 shown]
	v_add_f64 v[30:31], v[46:47], v[30:31]
	buffer_load_dword v46, off, s[64:67], 0 offset:204 ; 4-byte Folded Reload
	buffer_load_dword v47, off, s[64:67], 0 offset:208 ; 4-byte Folded Reload
	s_waitcnt vmcnt(8)
	v_add_f64 v[36:37], v[130:131], -v[36:37]
	s_waitcnt vmcnt(6)
	v_add_f64 v[42:43], v[42:43], v[128:129]
	s_waitcnt vmcnt(4)
	v_add_f64 v[44:45], v[126:127], -v[44:45]
	s_waitcnt vmcnt(2)
	v_add_f64 v[38:39], v[138:139], -v[38:39]
	v_add_f64 v[28:29], v[36:37], v[28:29]
	v_add_f64 v[20:21], v[42:43], v[20:21]
	buffer_load_dword v42, off, s[64:67], 0 offset:188 ; 4-byte Folded Reload
	buffer_load_dword v43, off, s[64:67], 0 offset:192 ; 4-byte Folded Reload
	;; [unrolled: 1-line block ×4, first 2 shown]
	v_add_f64 v[30:31], v[44:45], v[30:31]
	buffer_load_dword v44, off, s[64:67], 0 offset:236 ; 4-byte Folded Reload
	buffer_load_dword v45, off, s[64:67], 0 offset:240 ; 4-byte Folded Reload
	s_waitcnt vmcnt(6)
	v_add_f64 v[46:47], v[46:47], v[136:137]
	v_add_f64 v[28:29], v[38:39], v[28:29]
	;; [unrolled: 1-line block ×3, first 2 shown]
	buffer_load_dword v46, off, s[64:67], 0 offset:220 ; 4-byte Folded Reload
	buffer_load_dword v47, off, s[64:67], 0 offset:224 ; 4-byte Folded Reload
	;; [unrolled: 1-line block ×4, first 2 shown]
	s_waitcnt vmcnt(8)
	v_add_f64 v[42:43], v[134:135], -v[42:43]
	s_waitcnt vmcnt(6)
	v_add_f64 v[36:37], v[112:113], -v[36:37]
	s_waitcnt vmcnt(4)
	v_add_f64 v[44:45], v[44:45], v[142:143]
	v_add_f64 v[30:31], v[42:43], v[30:31]
	buffer_load_dword v42, off, s[64:67], 0 offset:268 ; 4-byte Folded Reload
	buffer_load_dword v43, off, s[64:67], 0 offset:272 ; 4-byte Folded Reload
	v_add_f64 v[28:29], v[36:37], v[28:29]
	v_add_f64 v[20:21], v[44:45], v[20:21]
	buffer_load_dword v44, off, s[64:67], 0 offset:252 ; 4-byte Folded Reload
	buffer_load_dword v45, off, s[64:67], 0 offset:256 ; 4-byte Folded Reload
	;; [unrolled: 1-line block ×4, first 2 shown]
	s_waitcnt vmcnt(8)
	v_add_f64 v[46:47], v[114:115], -v[46:47]
	s_waitcnt vmcnt(6)
	v_add_f64 v[38:39], v[122:123], -v[38:39]
	v_add_f64 v[30:31], v[46:47], v[30:31]
	v_add_f64 v[28:29], v[38:39], v[28:29]
	;; [unrolled: 1-line block ×4, first 2 shown]
	s_waitcnt vmcnt(4)
	v_add_f64 v[42:43], v[42:43], v[148:149]
	s_waitcnt vmcnt(2)
	v_add_f64 v[44:45], v[120:121], -v[44:45]
	s_waitcnt vmcnt(0)
	v_add_f64 v[46:47], v[132:133], -v[36:37]
	buffer_load_dword v36, off, s[64:67], 0 offset:300 ; 4-byte Folded Reload
	buffer_load_dword v37, off, s[64:67], 0 offset:304 ; 4-byte Folded Reload
	v_add_f64 v[42:43], v[42:43], v[20:21]
	buffer_load_dword v20, off, s[64:67], 0 offset:284 ; 4-byte Folded Reload
	buffer_load_dword v21, off, s[64:67], 0 offset:288 ; 4-byte Folded Reload
	v_add_f64 v[44:45], v[44:45], v[30:31]
	v_add_f64 v[30:31], v[34:35], v[0:1]
	;; [unrolled: 1-line block ×3, first 2 shown]
	v_mul_lo_u16_e32 v0, 17, v178
	v_lshlrev_b32_e32 v0, 4, v0
	s_waitcnt vmcnt(2)
	v_add_f64 v[36:37], v[36:37], v[154:155]
	s_waitcnt vmcnt(0)
	v_add_f64 v[48:49], v[104:105], -v[20:21]
	v_add_f64 v[20:21], v[14:15], v[40:41]
	v_add_f64 v[14:15], v[94:95], v[96:97]
	;; [unrolled: 1-line block ×6, first 2 shown]
	ds_write_b128 v0, v[36:39]
	ds_write_b128 v0, v[32:35] offset:16
	ds_write_b128 v0, v[28:31] offset:32
	;; [unrolled: 1-line block ×9, first 2 shown]
	buffer_load_dword v1, off, s[64:67], 0 offset:104 ; 4-byte Folded Reload
	buffer_load_dword v2, off, s[64:67], 0 offset:108 ; 4-byte Folded Reload
	buffer_load_dword v3, off, s[64:67], 0 offset:112 ; 4-byte Folded Reload
	buffer_load_dword v4, off, s[64:67], 0 offset:116 ; 4-byte Folded Reload
	s_waitcnt vmcnt(0)
	ds_write_b128 v0, v[1:4] offset:160
	buffer_load_dword v1, off, s[64:67], 0 offset:88 ; 4-byte Folded Reload
	buffer_load_dword v2, off, s[64:67], 0 offset:92 ; 4-byte Folded Reload
	buffer_load_dword v3, off, s[64:67], 0 offset:96 ; 4-byte Folded Reload
	buffer_load_dword v4, off, s[64:67], 0 offset:100 ; 4-byte Folded Reload
	s_waitcnt vmcnt(0)
	ds_write_b128 v0, v[1:4] offset:176
	;; [unrolled: 6-line block ×7, first 2 shown]
.LBB0_7:
	s_or_b64 exec, exec, s[36:37]
	s_movk_i32 s8, 0xf1
	v_mul_lo_u16_sdwa v0, v178, s8 dst_sel:DWORD dst_unused:UNUSED_PAD src0_sel:BYTE_0 src1_sel:DWORD
	v_lshrrev_b16_e32 v28, 12, v0
	v_mul_lo_u16_e32 v0, 17, v28
	v_sub_u16_e32 v0, v178, v0
	v_and_b32_e32 v29, 0xff, v0
	v_mov_b32_e32 v0, s2
	s_movk_i32 s22, 0x90
	v_mov_b32_e32 v1, s3
	v_mad_u64_u32 v[2:3], s[2:3], v29, s22, v[0:1]
	s_load_dwordx4 s[4:7], s[6:7], 0x0
	s_waitcnt vmcnt(0) lgkmcnt(0)
	s_barrier
	global_load_dwordx4 v[54:57], v[2:3], off
	global_load_dwordx4 v[31:34], v[2:3], off offset:16
	global_load_dwordx4 v[44:47], v[2:3], off offset:32
	global_load_dwordx4 v[40:43], v[2:3], off offset:48
	global_load_dwordx4 v[148:151], v[2:3], off offset:64
	global_load_dwordx4 v[140:143], v[2:3], off offset:80
	global_load_dwordx4 v[50:53], v[2:3], off offset:96
	global_load_dwordx4 v[144:147], v[2:3], off offset:112
	global_load_dwordx4 v[60:63], v[2:3], off offset:128
	ds_read_b128 v[2:5], v255
	ds_read_b128 v[6:9], v255 offset:2720
	ds_read_b128 v[10:13], v255 offset:5440
	;; [unrolled: 1-line block ×9, first 2 shown]
	s_mov_b32 s2, 0x134454ff
	s_mov_b32 s3, 0x3fee6f0e
	s_mov_b32 s17, 0xbfee6f0e
	s_mov_b32 s16, s2
	s_mov_b32 s8, 0x4755a5e
	s_mov_b32 s9, 0x3fe2cf23
	s_mov_b32 s19, 0xbfe2cf23
	s_mov_b32 s18, s8
	s_mov_b32 s10, 0x372fe950
	s_mov_b32 s11, 0x3fd3c6ef
	s_mov_b32 s20, 0x9b97f4a8
	s_mov_b32 s21, 0x3fe9e377
	v_mad_u64_u32 v[0:1], s[22:23], v178, s22, v[0:1]
	s_waitcnt vmcnt(0) lgkmcnt(0)
	s_barrier
	v_mul_f64 v[22:23], v[8:9], v[56:57]
	v_mul_f64 v[26:27], v[12:13], v[33:34]
	;; [unrolled: 1-line block ×17, first 2 shown]
	v_fma_f64 v[6:7], v[6:7], v[54:55], -v[22:23]
	v_fma_f64 v[10:11], v[10:11], v[31:32], -v[26:27]
	v_fma_f64 v[12:13], v[12:13], v[31:32], v[84:85]
	v_fma_f64 v[18:19], v[18:19], v[40:41], -v[90:91]
	v_fma_f64 v[20:21], v[20:21], v[40:41], v[92:93]
	v_fma_f64 v[22:23], v[64:65], v[148:149], -v[94:95]
	v_fma_f64 v[26:27], v[68:69], v[140:141], -v[98:99]
	v_fma_f64 v[64:65], v[70:71], v[140:141], v[100:101]
	v_fma_f64 v[68:69], v[72:73], v[50:51], -v[102:103]
	v_fma_f64 v[72:73], v[76:77], v[144:145], -v[106:107]
	v_mul_f64 v[112:113], v[80:81], v[62:63]
	v_fma_f64 v[8:9], v[8:9], v[54:55], v[24:25]
	v_fma_f64 v[14:15], v[14:15], v[44:45], -v[86:87]
	v_fma_f64 v[16:17], v[16:17], v[44:45], v[88:89]
	v_fma_f64 v[24:25], v[66:67], v[148:149], v[96:97]
	v_fma_f64 v[66:67], v[78:79], v[144:145], v[108:109]
	v_fma_f64 v[70:71], v[74:75], v[50:51], v[104:105]
	v_fma_f64 v[74:75], v[80:81], v[60:61], -v[110:111]
	v_add_f64 v[78:79], v[2:3], v[10:11]
	v_add_f64 v[80:81], v[18:19], v[26:27]
	v_add_f64 v[86:87], v[10:11], -v[18:19]
	v_add_f64 v[88:89], v[72:73], -v[26:27]
	v_add_f64 v[90:91], v[10:11], v[72:73]
	v_add_f64 v[96:97], v[4:5], v[12:13]
	;; [unrolled: 1-line block ×3, first 2 shown]
	v_fma_f64 v[76:77], v[82:83], v[60:61], v[112:113]
	v_add_f64 v[82:83], v[12:13], -v[66:67]
	v_add_f64 v[84:85], v[20:21], -v[64:65]
	;; [unrolled: 1-line block ×7, first 2 shown]
	v_add_f64 v[106:107], v[12:13], v[66:67]
	v_add_f64 v[12:13], v[20:21], -v[12:13]
	v_add_f64 v[112:113], v[22:23], v[68:69]
	v_add_f64 v[18:19], v[78:79], v[18:19]
	v_fma_f64 v[78:79], v[80:81], -0.5, v[2:3]
	v_add_f64 v[80:81], v[86:87], v[88:89]
	v_fma_f64 v[2:3], v[90:91], -0.5, v[2:3]
	;; [unrolled: 2-line block ×3, first 2 shown]
	v_add_f64 v[104:105], v[66:67], -v[64:65]
	v_add_f64 v[108:109], v[64:65], -v[66:67]
	v_add_f64 v[110:111], v[6:7], v[14:15]
	v_add_f64 v[114:115], v[16:17], -v[76:77]
	v_add_f64 v[86:87], v[92:93], v[94:95]
	v_fma_f64 v[4:5], v[106:107], -0.5, v[4:5]
	v_fma_f64 v[94:95], v[112:113], -0.5, v[6:7]
	v_add_f64 v[18:19], v[18:19], v[26:27]
	v_fma_f64 v[26:27], v[82:83], s[2:3], v[78:79]
	v_fma_f64 v[78:79], v[82:83], s[16:17], v[78:79]
	v_fma_f64 v[96:97], v[84:85], s[16:17], v[2:3]
	v_fma_f64 v[2:3], v[84:85], s[2:3], v[2:3]
	v_add_f64 v[20:21], v[20:21], v[64:65]
	v_fma_f64 v[64:65], v[10:11], s[16:17], v[88:89]
	v_fma_f64 v[88:89], v[10:11], s[2:3], v[88:89]
	v_add_f64 v[116:117], v[24:25], -v[70:71]
	v_add_f64 v[118:119], v[14:15], -v[22:23]
	;; [unrolled: 1-line block ×3, first 2 shown]
	v_add_f64 v[122:123], v[14:15], v[74:75]
	v_add_f64 v[90:91], v[102:103], v[104:105]
	;; [unrolled: 1-line block ×3, first 2 shown]
	v_fma_f64 v[98:99], v[100:101], s[2:3], v[4:5]
	v_fma_f64 v[4:5], v[100:101], s[16:17], v[4:5]
	;; [unrolled: 1-line block ×8, first 2 shown]
	v_add_f64 v[72:73], v[18:19], v[72:73]
	v_fma_f64 v[18:19], v[100:101], s[8:9], v[88:89]
	v_add_f64 v[66:67], v[20:21], v[66:67]
	v_fma_f64 v[26:27], v[80:81], s[10:11], v[26:27]
	v_fma_f64 v[78:79], v[80:81], s[10:11], v[78:79]
	;; [unrolled: 1-line block ×6, first 2 shown]
	v_add_f64 v[12:13], v[12:13], v[108:109]
	v_fma_f64 v[86:87], v[90:91], s[10:11], v[18:19]
	v_fma_f64 v[6:7], v[122:123], -0.5, v[6:7]
	v_fma_f64 v[4:5], v[10:11], s[8:9], v[4:5]
	v_add_f64 v[10:11], v[92:93], v[68:69]
	v_fma_f64 v[18:19], v[116:117], s[8:9], v[102:103]
	v_add_f64 v[20:21], v[118:119], v[120:121]
	v_add_f64 v[64:65], v[24:25], v[70:71]
	v_fma_f64 v[88:89], v[12:13], s[10:11], v[2:3]
	v_fma_f64 v[2:3], v[114:115], s[16:17], v[94:95]
	;; [unrolled: 1-line block ×4, first 2 shown]
	v_add_f64 v[94:95], v[10:11], v[74:75]
	v_add_f64 v[4:5], v[16:17], v[76:77]
	v_fma_f64 v[10:11], v[20:21], s[10:11], v[18:19]
	v_fma_f64 v[12:13], v[64:65], -0.5, v[8:9]
	v_add_f64 v[18:19], v[14:15], -v[74:75]
	v_add_f64 v[96:97], v[22:23], -v[68:69]
	v_fma_f64 v[64:65], v[114:115], s[8:9], v[90:91]
	v_add_f64 v[90:91], v[8:9], v[16:17]
	v_fma_f64 v[6:7], v[116:117], s[2:3], v[6:7]
	v_fma_f64 v[4:5], v[4:5], -0.5, v[8:9]
	v_add_f64 v[8:9], v[22:23], -v[14:15]
	v_add_f64 v[14:15], v[68:69], -v[74:75]
	v_fma_f64 v[22:23], v[18:19], s[16:17], v[12:13]
	v_add_f64 v[68:69], v[16:17], -v[24:25]
	v_add_f64 v[74:75], v[76:77], -v[70:71]
	v_add_f64 v[90:91], v[90:91], v[24:25]
	v_add_f64 v[16:17], v[24:25], -v[16:17]
	v_fma_f64 v[98:99], v[96:97], s[2:3], v[4:5]
	v_add_f64 v[24:25], v[70:71], -v[76:77]
	v_fma_f64 v[12:13], v[18:19], s[2:3], v[12:13]
	v_fma_f64 v[22:23], v[96:97], s[18:19], v[22:23]
	;; [unrolled: 1-line block ×3, first 2 shown]
	v_add_f64 v[68:69], v[68:69], v[74:75]
	v_fma_f64 v[2:3], v[116:117], s[18:19], v[2:3]
	v_add_f64 v[8:9], v[8:9], v[14:15]
	v_fma_f64 v[6:7], v[114:115], s[18:19], v[6:7]
	v_fma_f64 v[14:15], v[18:19], s[18:19], v[98:99]
	v_add_f64 v[16:17], v[16:17], v[24:25]
	v_fma_f64 v[12:13], v[96:97], s[8:9], v[12:13]
	v_fma_f64 v[4:5], v[18:19], s[8:9], v[4:5]
	;; [unrolled: 1-line block ×6, first 2 shown]
	v_add_f64 v[24:25], v[90:91], v[70:71]
	v_fma_f64 v[14:15], v[16:17], s[10:11], v[14:15]
	v_fma_f64 v[6:7], v[68:69], s[10:11], v[12:13]
	;; [unrolled: 1-line block ×3, first 2 shown]
	v_mul_f64 v[8:9], v[22:23], s[8:9]
	v_mul_f64 v[70:71], v[18:19], s[20:21]
	v_add_f64 v[3:4], v[72:73], v[94:95]
	v_mul_f64 v[68:69], v[64:65], s[10:11]
	v_add_f64 v[24:25], v[24:25], v[76:77]
	v_mul_f64 v[16:17], v[14:15], s[2:3]
	v_mul_f64 v[76:77], v[20:21], s[16:17]
	;; [unrolled: 1-line block ×3, first 2 shown]
	v_fma_f64 v[74:75], v[10:11], s[20:21], v[8:9]
	v_mul_f64 v[9:10], v[10:11], s[18:19]
	v_mul_f64 v[96:97], v[6:7], s[20:21]
	v_fma_f64 v[100:101], v[12:13], s[2:3], -v[68:69]
	v_fma_f64 v[70:71], v[6:7], s[8:9], -v[70:71]
	v_fma_f64 v[98:99], v[20:21], s[10:11], v[16:17]
	v_fma_f64 v[104:105], v[14:15], s[10:11], v[76:77]
	v_fma_f64 v[90:91], v[64:65], s[16:17], -v[90:91]
	v_add_f64 v[5:6], v[66:67], v[24:25]
	v_fma_f64 v[102:103], v[22:23], s[20:21], v[9:10]
	v_fma_f64 v[96:97], v[18:19], s[18:19], -v[96:97]
	v_add_f64 v[7:8], v[26:27], v[74:75]
	v_add_f64 v[15:16], v[82:83], v[100:101]
	;; [unrolled: 1-line block ×8, first 2 shown]
	v_add_f64 v[64:65], v[72:73], -v[94:95]
	v_add_f64 v[66:67], v[66:67], -v[24:25]
	;; [unrolled: 1-line block ×6, first 2 shown]
	v_mul_u32_u24_e32 v2, 0xaa, v28
	v_add_f64 v[76:77], v[82:83], -v[100:101]
	v_add_f64 v[74:75], v[88:89], -v[104:105]
	;; [unrolled: 1-line block ×4, first 2 shown]
	v_add_lshl_u32 v2, v2, v29, 4
	ds_write_b128 v2, v[3:6]
	ds_write_b128 v2, v[7:10] offset:272
	ds_write_b128 v2, v[11:14] offset:544
	;; [unrolled: 1-line block ×9, first 2 shown]
	s_waitcnt lgkmcnt(0)
	s_barrier
	global_load_dwordx4 v[80:83], v[0:1], off offset:2448
	global_load_dwordx4 v[72:75], v[0:1], off offset:2464
	;; [unrolled: 1-line block ×9, first 2 shown]
	ds_read_b128 v[3:6], v255 offset:2720
	ds_read_b128 v[7:10], v255
	ds_read_b128 v[11:14], v255 offset:5440
	ds_read_b128 v[15:18], v255 offset:8160
	;; [unrolled: 1-line block ×8, first 2 shown]
	s_waitcnt vmcnt(8) lgkmcnt(9)
	v_mul_f64 v[0:1], v[5:6], v[82:83]
	v_mul_f64 v[23:24], v[3:4], v[82:83]
	s_waitcnt vmcnt(7) lgkmcnt(7)
	v_mul_f64 v[25:26], v[11:12], v[74:75]
	s_waitcnt vmcnt(6) lgkmcnt(6)
	;; [unrolled: 2-line block ×4, first 2 shown]
	v_mul_f64 v[124:125], v[106:107], v[78:79]
	v_mul_f64 v[126:127], v[19:20], v[66:67]
	v_fma_f64 v[0:1], v[3:4], v[80:81], -v[0:1]
	v_mul_f64 v[3:4], v[13:14], v[74:75]
	v_fma_f64 v[5:6], v[5:6], v[80:81], v[23:24]
	v_mul_f64 v[23:24], v[15:16], v[70:71]
	v_fma_f64 v[21:22], v[21:22], v[64:65], v[126:127]
	v_fma_f64 v[3:4], v[11:12], v[72:73], -v[3:4]
	v_fma_f64 v[11:12], v[13:14], v[72:73], v[25:26]
	v_fma_f64 v[13:14], v[15:16], v[68:69], -v[120:121]
	v_fma_f64 v[15:16], v[19:20], v[64:65], -v[122:123]
	v_fma_f64 v[19:20], v[104:105], v[76:77], -v[124:125]
	s_waitcnt vmcnt(3) lgkmcnt(1)
	v_mul_f64 v[25:26], v[112:113], v[86:87]
	v_fma_f64 v[17:18], v[17:18], v[68:69], v[23:24]
	s_waitcnt vmcnt(2)
	v_mul_f64 v[23:24], v[102:103], v[94:95]
	v_mul_f64 v[120:121], v[100:101], v[94:95]
	;; [unrolled: 1-line block ×3, first 2 shown]
	v_add_f64 v[124:125], v[7:8], v[3:4]
	v_mul_f64 v[104:105], v[104:105], v[78:79]
	v_add_f64 v[126:127], v[15:16], v[19:20]
	v_fma_f64 v[25:26], v[114:115], v[84:85], v[25:26]
	s_waitcnt vmcnt(1)
	v_mul_f64 v[114:115], v[110:111], v[90:91]
	v_fma_f64 v[23:24], v[100:101], v[92:93], -v[23:24]
	v_fma_f64 v[100:101], v[102:103], v[92:93], v[120:121]
	v_fma_f64 v[102:103], v[112:113], v[84:85], -v[122:123]
	v_add_f64 v[112:113], v[124:125], v[15:16]
	v_fma_f64 v[104:105], v[106:107], v[76:77], v[104:105]
	v_fma_f64 v[120:121], v[126:127], -0.5, v[7:8]
	v_add_f64 v[122:123], v[11:12], -v[25:26]
	v_fma_f64 v[106:107], v[108:109], v[88:89], -v[114:115]
	v_mul_f64 v[108:109], v[108:109], v[90:91]
	s_waitcnt vmcnt(0) lgkmcnt(0)
	v_mul_f64 v[114:115], v[118:119], v[98:99]
	v_add_f64 v[124:125], v[3:4], v[102:103]
	v_mul_f64 v[126:127], v[116:117], v[98:99]
	v_add_f64 v[112:113], v[112:113], v[19:20]
	v_add_f64 v[130:131], v[21:22], -v[104:105]
	v_fma_f64 v[128:129], v[122:123], s[2:3], v[120:121]
	v_add_f64 v[132:133], v[3:4], -v[15:16]
	v_add_f64 v[134:135], v[102:103], -v[19:20]
	v_fma_f64 v[108:109], v[110:111], v[88:89], v[108:109]
	v_fma_f64 v[7:8], v[124:125], -0.5, v[7:8]
	v_fma_f64 v[110:111], v[116:117], v[96:97], -v[114:115]
	v_fma_f64 v[114:115], v[118:119], v[96:97], v[126:127]
	v_add_f64 v[124:125], v[112:113], v[102:103]
	v_fma_f64 v[112:113], v[130:131], s[8:9], v[128:129]
	v_add_f64 v[116:117], v[21:22], v[104:105]
	v_add_f64 v[118:119], v[132:133], v[134:135]
	v_fma_f64 v[120:121], v[122:123], s[16:17], v[120:121]
	v_fma_f64 v[126:127], v[130:131], s[16:17], v[7:8]
	v_add_f64 v[128:129], v[15:16], -v[3:4]
	v_add_f64 v[132:133], v[19:20], -v[102:103]
	v_fma_f64 v[7:8], v[130:131], s[2:3], v[7:8]
	v_add_f64 v[134:135], v[9:10], v[11:12]
	v_fma_f64 v[116:117], v[116:117], -0.5, v[9:10]
	v_fma_f64 v[136:137], v[118:119], s[10:11], v[112:113]
	v_add_f64 v[3:4], v[3:4], -v[102:103]
	v_fma_f64 v[112:113], v[122:123], s[8:9], v[126:127]
	v_add_f64 v[126:127], v[11:12], v[25:26]
	v_fma_f64 v[102:103], v[130:131], s[18:19], v[120:121]
	v_add_f64 v[120:121], v[128:129], v[132:133]
	;; [unrolled: 2-line block ×3, first 2 shown]
	v_add_f64 v[15:16], v[15:16], -v[19:20]
	v_fma_f64 v[128:129], v[3:4], s[16:17], v[116:117]
	v_add_f64 v[19:20], v[11:12], -v[21:22]
	v_fma_f64 v[9:10], v[126:127], -0.5, v[9:10]
	v_add_f64 v[130:131], v[25:26], -v[104:105]
	v_fma_f64 v[134:135], v[118:119], s[10:11], v[102:103]
	v_fma_f64 v[126:127], v[120:121], s[10:11], v[112:113]
	;; [unrolled: 1-line block ×3, first 2 shown]
	v_add_f64 v[102:103], v[122:123], v[104:105]
	v_fma_f64 v[116:117], v[3:4], s[2:3], v[116:117]
	v_add_f64 v[11:12], v[21:22], -v[11:12]
	v_fma_f64 v[120:121], v[15:16], s[2:3], v[9:10]
	v_add_f64 v[21:22], v[0:1], v[13:14]
	v_add_f64 v[104:105], v[104:105], -v[25:26]
	v_add_f64 v[112:113], v[23:24], v[106:107]
	v_fma_f64 v[118:119], v[15:16], s[18:19], v[128:129]
	v_add_f64 v[19:20], v[19:20], v[130:131]
	v_add_f64 v[25:26], v[102:103], v[25:26]
	v_fma_f64 v[102:103], v[15:16], s[8:9], v[116:117]
	v_fma_f64 v[9:10], v[15:16], s[16:17], v[9:10]
	v_add_f64 v[15:16], v[21:22], v[23:24]
	v_fma_f64 v[21:22], v[3:4], s[18:19], v[120:121]
	v_add_f64 v[11:12], v[11:12], v[104:105]
	v_fma_f64 v[112:113], v[112:113], -0.5, v[0:1]
	v_add_f64 v[122:123], v[17:18], -v[114:115]
	v_fma_f64 v[130:131], v[19:20], s[10:11], v[118:119]
	v_add_f64 v[118:119], v[13:14], -v[23:24]
	v_fma_f64 v[3:4], v[3:4], s[8:9], v[9:10]
	v_add_f64 v[9:10], v[15:16], v[106:107]
	v_fma_f64 v[15:16], v[19:20], s[10:11], v[102:103]
	v_fma_f64 v[19:20], v[11:12], s[10:11], v[21:22]
	v_add_f64 v[21:22], v[13:14], v[110:111]
	v_add_f64 v[102:103], v[100:101], v[108:109]
	v_fma_f64 v[104:105], v[122:123], s[2:3], v[112:113]
	v_add_f64 v[120:121], v[110:111], -v[106:107]
	v_fma_f64 v[3:4], v[11:12], s[10:11], v[3:4]
	v_fma_f64 v[11:12], v[122:123], s[16:17], v[112:113]
	v_add_f64 v[112:113], v[17:18], v[114:115]
	v_add_f64 v[116:117], v[100:101], -v[108:109]
	v_fma_f64 v[0:1], v[21:22], -0.5, v[0:1]
	v_fma_f64 v[21:22], v[102:103], -0.5, v[5:6]
	v_add_f64 v[102:103], v[13:14], -v[110:111]
	v_add_f64 v[118:119], v[118:119], v[120:121]
	v_add_f64 v[9:10], v[9:10], v[110:111]
	v_add_f64 v[13:14], v[23:24], -v[13:14]
	v_add_f64 v[110:111], v[106:107], -v[110:111]
	;; [unrolled: 1-line block ×3, first 2 shown]
	v_fma_f64 v[106:107], v[112:113], -0.5, v[5:6]
	v_add_f64 v[128:129], v[17:18], -v[100:101]
	v_fma_f64 v[120:121], v[102:103], s[16:17], v[21:22]
	v_add_f64 v[132:133], v[114:115], -v[108:109]
	v_add_f64 v[5:6], v[5:6], v[17:18]
	v_fma_f64 v[104:105], v[116:117], s[8:9], v[104:105]
	v_fma_f64 v[11:12], v[116:117], s[18:19], v[11:12]
	;; [unrolled: 1-line block ×3, first 2 shown]
	v_add_f64 v[13:14], v[13:14], v[110:111]
	v_fma_f64 v[110:111], v[23:24], s[2:3], v[106:107]
	v_add_f64 v[17:18], v[100:101], -v[17:18]
	v_add_f64 v[138:139], v[108:109], -v[114:115]
	v_fma_f64 v[0:1], v[116:117], s[2:3], v[0:1]
	v_fma_f64 v[116:117], v[23:24], s[18:19], v[120:121]
	v_add_f64 v[120:121], v[128:129], v[132:133]
	v_add_f64 v[5:6], v[5:6], v[100:101]
	v_fma_f64 v[21:22], v[102:103], s[2:3], v[21:22]
	v_fma_f64 v[100:101], v[23:24], s[16:17], v[106:107]
	;; [unrolled: 1-line block ×3, first 2 shown]
	v_add_f64 v[17:18], v[17:18], v[138:139]
	v_fma_f64 v[0:1], v[122:123], s[18:19], v[0:1]
	v_fma_f64 v[110:111], v[122:123], s[8:9], v[112:113]
	;; [unrolled: 1-line block ×6, first 2 shown]
	v_add_f64 v[5:6], v[5:6], v[108:109]
	v_fma_f64 v[11:12], v[118:119], s[10:11], v[11:12]
	v_fma_f64 v[102:103], v[17:18], s[10:11], v[106:107]
	;; [unrolled: 1-line block ×4, first 2 shown]
	v_mul_f64 v[106:107], v[112:113], s[8:9]
	v_fma_f64 v[21:22], v[120:121], s[10:11], v[21:22]
	v_fma_f64 v[17:18], v[17:18], s[10:11], v[23:24]
	v_add_f64 v[5:6], v[5:6], v[114:115]
	v_mul_f64 v[110:111], v[11:12], s[20:21]
	v_mul_f64 v[23:24], v[102:103], s[2:3]
	;; [unrolled: 1-line block ×4, first 2 shown]
	v_fma_f64 v[122:123], v[104:105], s[20:21], v[106:107]
	v_mul_f64 v[106:107], v[104:105], s[18:19]
	v_mul_f64 v[116:117], v[17:18], s[10:11]
	;; [unrolled: 1-line block ×3, first 2 shown]
	v_fma_f64 v[21:22], v[21:22], s[8:9], -v[110:111]
	v_fma_f64 v[13:14], v[13:14], s[10:11], v[23:24]
	v_fma_f64 v[17:18], v[17:18], s[2:3], -v[108:109]
	v_fma_f64 v[138:139], v[102:103], s[10:11], v[114:115]
	v_add_f64 v[100:101], v[124:125], v[9:10]
	v_fma_f64 v[23:24], v[112:113], s[20:21], v[106:107]
	v_fma_f64 v[0:1], v[0:1], s[16:17], -v[116:117]
	v_fma_f64 v[11:12], v[11:12], s[18:19], -v[118:119]
	v_add_f64 v[104:105], v[136:137], v[122:123]
	v_add_f64 v[108:109], v[126:127], v[13:14]
	;; [unrolled: 1-line block ×9, first 2 shown]
	v_add_f64 v[120:121], v[124:125], -v[9:10]
	v_add_f64 v[124:125], v[136:137], -v[122:123]
	;; [unrolled: 1-line block ×10, first 2 shown]
	ds_write_b128 v255, v[100:103]
	ds_write_b128 v255, v[104:107] offset:2720
	ds_write_b128 v255, v[108:111] offset:5440
	;; [unrolled: 1-line block ×9, first 2 shown]
	s_waitcnt lgkmcnt(0)
	s_barrier
	s_and_saveexec_b64 s[2:3], s[0:1]
	s_cbranch_execz .LBB0_9
; %bb.8:
	v_add_co_u32_e32 v0, vcc, s12, v255
	v_mov_b32_e32 v1, s13
	v_addc_co_u32_e32 v1, vcc, 0, v1, vcc
	v_add_co_u32_e32 v15, vcc, 0x6a40, v0
	v_addc_co_u32_e32 v16, vcc, 0, v1, vcc
	v_add_co_u32_e32 v7, vcc, 0x6000, v0
	v_addc_co_u32_e32 v8, vcc, 0, v1, vcc
	global_load_dwordx4 v[7:10], v[7:8], off offset:2624
	ds_read_b128 v[3:6], v255
	s_movk_i32 s8, 0x7000
	s_waitcnt vmcnt(0) lgkmcnt(0)
	v_mul_f64 v[11:12], v[5:6], v[9:10]
	v_fma_f64 v[11:12], v[3:4], v[7:8], -v[11:12]
	v_mul_f64 v[3:4], v[3:4], v[9:10]
	v_fma_f64 v[13:14], v[5:6], v[7:8], v[3:4]
	global_load_dwordx4 v[7:10], v[15:16], off offset:1600
	ds_read_b128 v[3:6], v255 offset:1600
	ds_write_b128 v255, v[11:14]
	s_waitcnt vmcnt(0) lgkmcnt(1)
	v_mul_f64 v[11:12], v[5:6], v[9:10]
	v_fma_f64 v[11:12], v[3:4], v[7:8], -v[11:12]
	v_mul_f64 v[3:4], v[3:4], v[9:10]
	v_fma_f64 v[13:14], v[5:6], v[7:8], v[3:4]
	global_load_dwordx4 v[7:10], v[15:16], off offset:3200
	ds_read_b128 v[3:6], v255 offset:3200
	ds_write_b128 v255, v[11:14] offset:1600
	s_waitcnt vmcnt(0) lgkmcnt(1)
	v_mul_f64 v[11:12], v[5:6], v[9:10]
	v_fma_f64 v[11:12], v[3:4], v[7:8], -v[11:12]
	v_mul_f64 v[3:4], v[3:4], v[9:10]
	v_fma_f64 v[13:14], v[5:6], v[7:8], v[3:4]
	v_add_co_u32_e32 v7, vcc, s8, v0
	v_addc_co_u32_e32 v8, vcc, 0, v1, vcc
	global_load_dwordx4 v[7:10], v[7:8], off offset:3328
	ds_read_b128 v[3:6], v255 offset:4800
	s_mov_b32 s8, 0x8000
	ds_write_b128 v255, v[11:14] offset:3200
	v_add_co_u32_e32 v15, vcc, s8, v0
	v_addc_co_u32_e32 v16, vcc, 0, v1, vcc
	s_mov_b32 s8, 0x9000
	s_waitcnt vmcnt(0) lgkmcnt(1)
	v_mul_f64 v[11:12], v[5:6], v[9:10]
	v_fma_f64 v[11:12], v[3:4], v[7:8], -v[11:12]
	v_mul_f64 v[3:4], v[3:4], v[9:10]
	v_fma_f64 v[13:14], v[5:6], v[7:8], v[3:4]
	global_load_dwordx4 v[7:10], v[15:16], off offset:832
	ds_read_b128 v[3:6], v255 offset:6400
	ds_write_b128 v255, v[11:14] offset:4800
	s_waitcnt vmcnt(0) lgkmcnt(1)
	v_mul_f64 v[11:12], v[5:6], v[9:10]
	v_fma_f64 v[11:12], v[3:4], v[7:8], -v[11:12]
	v_mul_f64 v[3:4], v[3:4], v[9:10]
	v_fma_f64 v[13:14], v[5:6], v[7:8], v[3:4]
	global_load_dwordx4 v[7:10], v[15:16], off offset:2432
	ds_read_b128 v[3:6], v255 offset:8000
	ds_write_b128 v255, v[11:14] offset:6400
	s_waitcnt vmcnt(0) lgkmcnt(1)
	v_mul_f64 v[11:12], v[5:6], v[9:10]
	v_fma_f64 v[11:12], v[3:4], v[7:8], -v[11:12]
	v_mul_f64 v[3:4], v[3:4], v[9:10]
	v_fma_f64 v[13:14], v[5:6], v[7:8], v[3:4]
	global_load_dwordx4 v[7:10], v[15:16], off offset:4032
	ds_read_b128 v[3:6], v255 offset:9600
	v_add_co_u32_e32 v15, vcc, s8, v0
	v_addc_co_u32_e32 v16, vcc, 0, v1, vcc
	s_mov_b32 s8, 0xa000
	ds_write_b128 v255, v[11:14] offset:8000
	s_waitcnt vmcnt(0) lgkmcnt(1)
	v_mul_f64 v[11:12], v[5:6], v[9:10]
	v_fma_f64 v[11:12], v[3:4], v[7:8], -v[11:12]
	v_mul_f64 v[3:4], v[3:4], v[9:10]
	v_fma_f64 v[13:14], v[5:6], v[7:8], v[3:4]
	global_load_dwordx4 v[7:10], v[15:16], off offset:1536
	ds_read_b128 v[3:6], v255 offset:11200
	ds_write_b128 v255, v[11:14] offset:9600
	s_waitcnt vmcnt(0) lgkmcnt(1)
	v_mul_f64 v[11:12], v[5:6], v[9:10]
	v_fma_f64 v[11:12], v[3:4], v[7:8], -v[11:12]
	v_mul_f64 v[3:4], v[3:4], v[9:10]
	v_fma_f64 v[13:14], v[5:6], v[7:8], v[3:4]
	global_load_dwordx4 v[7:10], v[15:16], off offset:3136
	ds_read_b128 v[3:6], v255 offset:12800
	v_add_co_u32_e32 v15, vcc, s8, v0
	v_addc_co_u32_e32 v16, vcc, 0, v1, vcc
	s_mov_b32 s8, 0xb000
	ds_write_b128 v255, v[11:14] offset:11200
	s_waitcnt vmcnt(0) lgkmcnt(1)
	v_mul_f64 v[11:12], v[5:6], v[9:10]
	v_fma_f64 v[11:12], v[3:4], v[7:8], -v[11:12]
	v_mul_f64 v[3:4], v[3:4], v[9:10]
	v_fma_f64 v[13:14], v[5:6], v[7:8], v[3:4]
	global_load_dwordx4 v[7:10], v[15:16], off offset:640
	ds_read_b128 v[3:6], v255 offset:14400
	ds_write_b128 v255, v[11:14] offset:12800
	s_waitcnt vmcnt(0) lgkmcnt(1)
	v_mul_f64 v[11:12], v[5:6], v[9:10]
	v_fma_f64 v[11:12], v[3:4], v[7:8], -v[11:12]
	v_mul_f64 v[3:4], v[3:4], v[9:10]
	v_fma_f64 v[13:14], v[5:6], v[7:8], v[3:4]
	global_load_dwordx4 v[7:10], v[15:16], off offset:2240
	ds_read_b128 v[3:6], v255 offset:16000
	;; [unrolled: 8-line block ×3, first 2 shown]
	v_add_co_u32_e32 v15, vcc, s8, v0
	v_addc_co_u32_e32 v16, vcc, 0, v1, vcc
	s_mov_b32 s8, 0xc000
	ds_write_b128 v255, v[11:14] offset:16000
	v_add_co_u32_e32 v0, vcc, s8, v0
	v_addc_co_u32_e32 v1, vcc, 0, v1, vcc
	s_waitcnt vmcnt(0) lgkmcnt(1)
	v_mul_f64 v[11:12], v[5:6], v[9:10]
	v_fma_f64 v[11:12], v[3:4], v[7:8], -v[11:12]
	v_mul_f64 v[3:4], v[3:4], v[9:10]
	v_fma_f64 v[13:14], v[5:6], v[7:8], v[3:4]
	global_load_dwordx4 v[7:10], v[15:16], off offset:1344
	ds_read_b128 v[3:6], v255 offset:19200
	ds_write_b128 v255, v[11:14] offset:17600
	s_waitcnt vmcnt(0) lgkmcnt(1)
	v_mul_f64 v[11:12], v[5:6], v[9:10]
	v_fma_f64 v[11:12], v[3:4], v[7:8], -v[11:12]
	v_mul_f64 v[3:4], v[3:4], v[9:10]
	v_fma_f64 v[13:14], v[5:6], v[7:8], v[3:4]
	global_load_dwordx4 v[7:10], v[15:16], off offset:2944
	ds_read_b128 v[3:6], v255 offset:20800
	ds_write_b128 v255, v[11:14] offset:19200
	;; [unrolled: 8-line block ×5, first 2 shown]
	s_waitcnt vmcnt(0) lgkmcnt(1)
	v_mul_f64 v[0:1], v[5:6], v[9:10]
	v_fma_f64 v[11:12], v[3:4], v[7:8], -v[0:1]
	v_mul_f64 v[0:1], v[3:4], v[9:10]
	v_fma_f64 v[13:14], v[5:6], v[7:8], v[0:1]
	ds_write_b128 v255, v[11:14] offset:25600
.LBB0_9:
	s_or_b64 exec, exec, s[2:3]
	s_waitcnt lgkmcnt(0)
	s_barrier
	s_and_saveexec_b64 s[2:3], s[0:1]
	s_cbranch_execz .LBB0_11
; %bb.10:
	ds_read_b128 v[100:103], v255
	ds_read_b128 v[104:107], v255 offset:1600
	ds_read_b128 v[108:111], v255 offset:3200
	ds_read_b128 v[112:115], v255 offset:4800
	ds_read_b128 v[116:119], v255 offset:6400
	ds_read_b128 v[120:123], v255 offset:8000
	ds_read_b128 v[124:127], v255 offset:9600
	ds_read_b128 v[128:131], v255 offset:11200
	ds_read_b128 v[132:135], v255 offset:12800
	ds_read_b128 v[136:139], v255 offset:14400
	ds_read_b128 v[3:6], v255 offset:16000
	s_waitcnt lgkmcnt(0)
	buffer_store_dword v3, off, s[64:67], 0 offset:104 ; 4-byte Folded Spill
	s_nop 0
	buffer_store_dword v4, off, s[64:67], 0 offset:108 ; 4-byte Folded Spill
	buffer_store_dword v5, off, s[64:67], 0 offset:112 ; 4-byte Folded Spill
	buffer_store_dword v6, off, s[64:67], 0 offset:116 ; 4-byte Folded Spill
	ds_read_b128 v[3:6], v255 offset:17600
	s_waitcnt lgkmcnt(0)
	buffer_store_dword v3, off, s[64:67], 0 offset:88 ; 4-byte Folded Spill
	s_nop 0
	buffer_store_dword v4, off, s[64:67], 0 offset:92 ; 4-byte Folded Spill
	buffer_store_dword v5, off, s[64:67], 0 offset:96 ; 4-byte Folded Spill
	buffer_store_dword v6, off, s[64:67], 0 offset:100 ; 4-byte Folded Spill
	ds_read_b128 v[3:6], v255 offset:19200
	;; [unrolled: 7-line block ×6, first 2 shown]
	s_waitcnt lgkmcnt(0)
	buffer_store_dword v3, off, s[64:67], 0 offset:8 ; 4-byte Folded Spill
	s_nop 0
	buffer_store_dword v4, off, s[64:67], 0 offset:12 ; 4-byte Folded Spill
	buffer_store_dword v5, off, s[64:67], 0 offset:16 ; 4-byte Folded Spill
	;; [unrolled: 1-line block ×3, first 2 shown]
.LBB0_11:
	s_or_b64 exec, exec, s[2:3]
	s_waitcnt vmcnt(0)
	s_barrier
	s_and_saveexec_b64 s[2:3], s[0:1]
	s_cbranch_execz .LBB0_13
; %bb.12:
	buffer_store_dword v54, off, s[64:67], 0 offset:188 ; 4-byte Folded Spill
	s_nop 0
	buffer_store_dword v55, off, s[64:67], 0 offset:192 ; 4-byte Folded Spill
	buffer_store_dword v56, off, s[64:67], 0 offset:196 ; 4-byte Folded Spill
	buffer_store_dword v57, off, s[64:67], 0 offset:200 ; 4-byte Folded Spill
	buffer_load_dword v55, off, s[64:67], 0 offset:104 ; 4-byte Folded Reload
	s_nop 0
	buffer_load_dword v56, off, s[64:67], 0 offset:108 ; 4-byte Folded Reload
	buffer_load_dword v57, off, s[64:67], 0 offset:112 ; 4-byte Folded Reload
	buffer_load_dword v58, off, s[64:67], 0 offset:116 ; 4-byte Folded Reload
	s_nop 0
	buffer_store_dword v31, off, s[64:67], 0 offset:156 ; 4-byte Folded Spill
	s_nop 0
	buffer_store_dword v32, off, s[64:67], 0 offset:160 ; 4-byte Folded Spill
	buffer_store_dword v33, off, s[64:67], 0 offset:164 ; 4-byte Folded Spill
	buffer_store_dword v34, off, s[64:67], 0 offset:168 ; 4-byte Folded Spill
	buffer_load_dword v31, off, s[64:67], 0 offset:8 ; 4-byte Folded Reload
	s_nop 0
	buffer_load_dword v32, off, s[64:67], 0 offset:12 ; 4-byte Folded Reload
	buffer_load_dword v33, off, s[64:67], 0 offset:16 ; 4-byte Folded Reload
	buffer_load_dword v34, off, s[64:67], 0 offset:20 ; 4-byte Folded Reload
	s_nop 0
	;; [unrolled: 11-line block ×4, first 2 shown]
	buffer_store_dword v40, off, s[64:67], 0 offset:124 ; 4-byte Folded Spill
	s_nop 0
	buffer_store_dword v41, off, s[64:67], 0 offset:128 ; 4-byte Folded Spill
	buffer_store_dword v42, off, s[64:67], 0 offset:132 ; 4-byte Folded Spill
	;; [unrolled: 1-line block ×3, first 2 shown]
	buffer_load_dword v43, off, s[64:67], 0 offset:56 ; 4-byte Folded Reload
	s_nop 0
	buffer_load_dword v44, off, s[64:67], 0 offset:60 ; 4-byte Folded Reload
	buffer_load_dword v45, off, s[64:67], 0 offset:64 ; 4-byte Folded Reload
	;; [unrolled: 1-line block ×11, first 2 shown]
	v_add_f64 v[3:4], v[132:133], -v[136:137]
	s_mov_b32 s52, 0xeb564b22
	s_mov_b32 s10, 0x923c349f
	;; [unrolled: 1-line block ×7, first 2 shown]
	v_mov_b32_e32 v202, v4
	v_mul_f64 v[0:1], v[3:4], s[52:53]
	v_mov_b32_e32 v201, v3
	s_mov_b32 s16, 0x7faef3
	s_mov_b32 s41, 0x3fd71e95
	;; [unrolled: 1-line block ×21, first 2 shown]
	buffer_store_dword v140, off, s[64:67], 0 offset:204 ; 4-byte Folded Spill
	s_nop 0
	buffer_store_dword v141, off, s[64:67], 0 offset:208 ; 4-byte Folded Spill
	buffer_store_dword v142, off, s[64:67], 0 offset:212 ; 4-byte Folded Spill
	buffer_store_dword v143, off, s[64:67], 0 offset:216 ; 4-byte Folded Spill
	buffer_store_dword v144, off, s[64:67], 0 offset:220 ; 4-byte Folded Spill
	s_nop 0
	buffer_store_dword v145, off, s[64:67], 0 offset:224 ; 4-byte Folded Spill
	buffer_store_dword v146, off, s[64:67], 0 offset:228 ; 4-byte Folded Spill
	buffer_store_dword v147, off, s[64:67], 0 offset:232 ; 4-byte Folded Spill
	;; [unrolled: 5-line block ×3, first 2 shown]
	v_add_f64 v[225:226], v[134:135], -v[138:139]
	s_mov_b32 s34, 0xc61f0d01
	s_mov_b32 s35, 0xbfd183b1
	v_mov_b32_e32 v59, v178
	v_add_f64 v[177:178], v[134:135], v[138:139]
	v_add_f64 v[223:224], v[132:133], v[136:137]
	s_mov_b32 s8, 0x3259b75e
	s_mov_b32 s9, 0x3fb79ee6
	s_mov_b32 s43, 0xbfefdd0d
	s_mov_b32 s42, s52
	s_mov_b32 s57, 0x3fe9895b
	s_mov_b32 s56, s30
	s_mov_b32 s39, 0xbfd71e95
	s_mov_b32 s38, s40
	s_mov_b32 s55, 0x3feec746
	s_mov_b32 s54, s10
	s_mov_b32 s47, 0xbfe58eea
	s_mov_b32 s46, s48
	s_mov_b32 s59, 0x3fe0d888
	s_mov_b32 s58, s26
	s_mov_b32 s51, 0xbfeca52d
	s_mov_b32 s50, s44
	v_mul_f64 v[249:250], v[201:202], s[48:49]
	v_mov_b32_e32 v238, v202
	v_mov_b32_e32 v237, v201
	s_waitcnt vmcnt(54)
	v_add_f64 v[5:6], v[128:129], -v[55:56]
	s_waitcnt vmcnt(52)
	v_add_f64 v[229:230], v[130:131], -v[57:58]
	s_waitcnt vmcnt(46)
	v_add_f64 v[29:30], v[104:105], -v[31:32]
	s_waitcnt vmcnt(44)
	v_add_f64 v[193:194], v[106:107], v[33:34]
	s_waitcnt vmcnt(38)
	v_add_f64 v[21:22], v[124:125], -v[51:52]
	v_add_f64 v[23:24], v[106:107], -v[33:34]
	s_waitcnt vmcnt(30)
	v_add_f64 v[19:20], v[120:121], -v[47:48]
	s_waitcnt vmcnt(28)
	v_add_f64 v[185:186], v[122:123], v[49:50]
	v_mov_b32_e32 v200, v6
	v_mul_f64 v[3:4], v[5:6], s[10:11]
	v_mov_b32_e32 v199, v5
	s_waitcnt vmcnt(18)
	v_add_f64 v[181:182], v[108:109], -v[35:36]
	v_mul_f64 v[5:6], v[29:30], s[20:21]
	s_waitcnt vmcnt(14)
	v_add_f64 v[13:14], v[112:113], -v[39:40]
	v_add_f64 v[189:190], v[110:111], v[37:38]
	v_add_f64 v[17:18], v[116:117], -v[43:44]
	s_waitcnt vmcnt(12)
	v_add_f64 v[191:192], v[114:115], v[41:42]
	v_add_f64 v[187:188], v[118:119], v[45:46]
	v_mov_b32_e32 v175, v20
	v_mul_f64 v[7:8], v[181:182], s[40:41]
	v_fma_f64 v[9:10], v[193:194], s[16:17], v[5:6]
	v_mov_b32_e32 v212, v14
	v_mul_f64 v[11:12], v[13:14], s[26:27]
	v_mov_b32_e32 v211, v13
	v_mov_b32_e32 v180, v18
	v_mul_f64 v[15:16], v[17:18], s[48:49]
	v_mov_b32_e32 v179, v17
	v_fma_f64 v[13:14], v[189:190], s[22:23], v[7:8]
	v_add_f64 v[9:10], v[102:103], v[9:10]
	v_mov_b32_e32 v174, v19
	v_fma_f64 v[17:18], v[191:192], s[18:19], v[11:12]
	v_mov_b32_e32 v28, v22
	v_add_f64 v[25:26], v[110:111], -v[37:38]
	v_mov_b32_e32 v27, v21
	v_add_f64 v[183:184], v[126:127], v[53:54]
	v_add_f64 v[209:210], v[104:105], v[31:32]
	;; [unrolled: 1-line block ×3, first 2 shown]
	v_mul_f64 v[13:14], v[19:20], s[30:31]
	v_fma_f64 v[19:20], v[187:188], s[24:25], v[15:16]
	v_mov_b32_e32 v214, v24
	v_mov_b32_e32 v220, v26
	;; [unrolled: 1-line block ×3, first 2 shown]
	v_add_f64 v[203:204], v[114:115], -v[41:42]
	v_add_f64 v[207:208], v[108:109], v[35:36]
	v_add_f64 v[9:10], v[17:18], v[9:10]
	v_mul_f64 v[17:18], v[21:22], s[44:45]
	v_fma_f64 v[21:22], v[185:186], s[28:29], v[13:14]
	v_mov_b32_e32 v219, v25
	v_add_f64 v[215:216], v[118:119], -v[45:46]
	v_add_f64 v[205:206], v[112:113], v[39:40]
	v_add_f64 v[195:196], v[122:123], -v[49:50]
	v_fma_f64 v[5:6], v[193:194], s[16:17], -v[5:6]
	v_add_f64 v[9:10], v[19:20], v[9:10]
	v_mul_f64 v[19:20], v[23:24], s[20:21]
	v_fma_f64 v[23:24], v[183:184], s[36:37], v[17:18]
	v_add_f64 v[217:218], v[116:117], v[43:44]
	v_mul_f64 v[144:145], v[215:216], s[48:49]
	v_add_f64 v[221:222], v[126:127], -v[53:54]
	v_fma_f64 v[7:8], v[189:190], s[22:23], -v[7:8]
	v_add_f64 v[5:6], v[102:103], v[5:6]
	v_add_f64 v[9:10], v[21:22], v[9:10]
	v_mul_f64 v[21:22], v[25:26], s[40:41]
	v_fma_f64 v[25:26], v[209:210], s[16:17], -v[19:20]
	v_fma_f64 v[19:20], v[209:210], s[16:17], v[19:20]
	v_add_f64 v[233:234], v[120:121], v[47:48]
	v_fma_f64 v[148:149], v[217:218], s[24:25], -v[144:145]
	v_fma_f64 v[11:12], v[191:192], s[18:19], -v[11:12]
	v_add_f64 v[5:6], v[7:8], v[5:6]
	v_add_f64 v[9:10], v[23:24], v[9:10]
	v_mul_f64 v[23:24], v[203:204], s[26:27]
	v_fma_f64 v[142:143], v[207:208], s[22:23], -v[21:22]
	v_add_f64 v[25:26], v[100:101], v[25:26]
	v_fma_f64 v[21:22], v[207:208], s[22:23], v[21:22]
	v_add_f64 v[19:20], v[100:101], v[19:20]
	v_add_f64 v[231:232], v[124:125], v[51:52]
	v_mul_f64 v[7:8], v[221:222], s[44:45]
	v_add_f64 v[197:198], v[130:131], v[57:58]
	v_fma_f64 v[146:147], v[205:206], s[18:19], -v[23:24]
	v_fma_f64 v[15:16], v[187:188], s[24:25], -v[15:16]
	v_add_f64 v[25:26], v[142:143], v[25:26]
	v_mul_f64 v[142:143], v[195:196], s[30:31]
	v_fma_f64 v[23:24], v[205:206], s[18:19], v[23:24]
	v_add_f64 v[19:20], v[21:22], v[19:20]
	v_add_f64 v[5:6], v[11:12], v[5:6]
	;; [unrolled: 1-line block ×3, first 2 shown]
	v_mul_f64 v[11:12], v[229:230], s[10:11]
	v_fma_f64 v[21:22], v[231:232], s[36:37], -v[7:8]
	v_add_f64 v[25:26], v[146:147], v[25:26]
	v_fma_f64 v[146:147], v[233:234], s[28:29], -v[142:143]
	v_fma_f64 v[140:141], v[197:198], s[34:35], v[3:4]
	v_fma_f64 v[13:14], v[185:186], s[28:29], -v[13:14]
	v_add_f64 v[19:20], v[23:24], v[19:20]
	v_add_f64 v[5:6], v[15:16], v[5:6]
	v_mul_f64 v[15:16], v[225:226], s[52:53]
	v_fma_f64 v[23:24], v[227:228], s[34:35], -v[11:12]
	v_add_f64 v[25:26], v[148:149], v[25:26]
	v_fma_f64 v[17:18], v[183:184], s[36:37], -v[17:18]
	v_add_f64 v[9:10], v[140:141], v[9:10]
	v_fma_f64 v[144:145], v[217:218], s[24:25], v[144:145]
	v_mul_f64 v[150:151], v[219:220], s[44:45]
	v_add_f64 v[5:6], v[13:14], v[5:6]
	v_fma_f64 v[13:14], v[177:178], s[8:9], v[0:1]
	v_fma_f64 v[140:141], v[223:224], s[8:9], -v[15:16]
	v_add_f64 v[25:26], v[146:147], v[25:26]
	v_mul_f64 v[154:155], v[211:212], s[42:43]
	v_mul_f64 v[158:159], v[203:204], s[42:43]
	v_add_f64 v[19:20], v[144:145], v[19:20]
	v_mul_f64 v[144:145], v[181:182], s[44:45]
	v_add_f64 v[5:6], v[17:18], v[5:6]
	v_mul_f64 v[17:18], v[29:30], s[26:27]
	v_fma_f64 v[160:161], v[207:208], s[36:37], -v[150:151]
	v_add_f64 v[21:22], v[21:22], v[25:26]
	v_mul_f64 v[148:149], v[179:180], s[56:57]
	v_fma_f64 v[164:165], v[191:192], s[8:9], v[154:155]
	v_fma_f64 v[166:167], v[205:206], s[8:9], -v[158:159]
	v_fma_f64 v[156:157], v[189:190], s[36:37], v[144:145]
	v_fma_f64 v[144:145], v[189:190], s[36:37], -v[144:145]
	;; [unrolled: 2-line block ×3, first 2 shown]
	v_add_f64 v[21:22], v[23:24], v[21:22]
	v_add_f64 v[23:24], v[13:14], v[9:10]
	v_fma_f64 v[150:151], v[207:208], s[36:37], v[150:151]
	v_fma_f64 v[25:26], v[233:234], s[28:29], v[142:143]
	v_mul_f64 v[13:14], v[174:175], s[38:39]
	v_fma_f64 v[162:163], v[187:188], s[28:29], v[148:149]
	v_add_f64 v[146:147], v[102:103], v[146:147]
	v_add_f64 v[17:18], v[102:103], v[17:18]
	;; [unrolled: 1-line block ×3, first 2 shown]
	v_fma_f64 v[154:155], v[191:192], s[8:9], -v[154:155]
	buffer_store_dword v21, off, s[64:67], 0 offset:252 ; 4-byte Folded Spill
	s_nop 0
	buffer_store_dword v22, off, s[64:67], 0 offset:256 ; 4-byte Folded Spill
	buffer_store_dword v23, off, s[64:67], 0 offset:260 ; 4-byte Folded Spill
	;; [unrolled: 1-line block ×3, first 2 shown]
	v_mul_f64 v[23:24], v[213:214], s[26:27]
	v_add_f64 v[146:147], v[156:157], v[146:147]
	v_mul_f64 v[156:157], v[215:216], s[56:57]
	v_add_f64 v[17:18], v[144:145], v[17:18]
	v_fma_f64 v[144:145], v[205:206], s[8:9], v[158:159]
	v_fma_f64 v[3:4], v[197:198], s[34:35], -v[3:4]
	v_fma_f64 v[7:8], v[231:232], s[36:37], v[7:8]
	v_add_f64 v[19:20], v[25:26], v[19:20]
	v_fma_f64 v[152:153], v[209:210], s[18:19], -v[23:24]
	v_fma_f64 v[23:24], v[209:210], s[18:19], v[23:24]
	v_add_f64 v[146:147], v[164:165], v[146:147]
	v_fma_f64 v[164:165], v[217:218], s[28:29], -v[156:157]
	v_fma_f64 v[9:10], v[227:228], s[34:35], v[11:12]
	v_mul_f64 v[11:12], v[27:28], s[20:21]
	v_fma_f64 v[25:26], v[185:186], s[22:23], v[13:14]
	v_fma_f64 v[148:149], v[187:188], s[28:29], -v[148:149]
	v_add_f64 v[152:153], v[100:101], v[152:153]
	v_add_f64 v[23:24], v[100:101], v[23:24]
	;; [unrolled: 1-line block ×4, first 2 shown]
	v_fma_f64 v[154:155], v[217:218], s[28:29], v[156:157]
	v_add_f64 v[7:8], v[7:8], v[19:20]
	v_add_f64 v[3:4], v[3:4], v[5:6]
	v_mul_f64 v[5:6], v[199:200], s[48:49]
	v_add_f64 v[152:153], v[160:161], v[152:153]
	v_mul_f64 v[160:161], v[195:196], s[38:39]
	;; [unrolled: 2-line block ×3, first 2 shown]
	v_fma_f64 v[21:22], v[183:184], s[16:17], v[11:12]
	v_add_f64 v[25:26], v[25:26], v[146:147]
	v_fma_f64 v[13:14], v[185:186], s[22:23], -v[13:14]
	v_add_f64 v[17:18], v[148:149], v[17:18]
	v_add_f64 v[152:153], v[166:167], v[152:153]
	v_fma_f64 v[158:159], v[233:234], s[22:23], -v[160:161]
	v_add_f64 v[23:24], v[144:145], v[23:24]
	v_mul_f64 v[144:145], v[229:230], s[48:49]
	v_fma_f64 v[146:147], v[231:232], s[16:17], -v[150:151]
	v_fma_f64 v[148:149], v[233:234], s[22:23], v[160:161]
	v_add_f64 v[7:8], v[9:10], v[7:8]
	v_mul_f64 v[9:10], v[201:202], s[10:11]
	v_add_f64 v[152:153], v[164:165], v[152:153]
	v_fma_f64 v[19:20], v[197:198], s[24:25], v[5:6]
	v_add_f64 v[23:24], v[154:155], v[23:24]
	v_add_f64 v[21:22], v[21:22], v[25:26]
	v_mul_f64 v[25:26], v[225:226], s[10:11]
	v_fma_f64 v[154:155], v[227:228], s[24:25], -v[144:145]
	v_fma_f64 v[11:12], v[183:184], s[16:17], -v[11:12]
	v_add_f64 v[13:14], v[13:14], v[17:18]
	v_add_f64 v[152:153], v[158:159], v[152:153]
	v_fma_f64 v[17:18], v[231:232], s[16:17], v[150:151]
	v_add_f64 v[23:24], v[148:149], v[23:24]
	v_fma_f64 v[0:1], v[177:178], s[8:9], -v[0:1]
	v_fma_f64 v[15:16], v[223:224], s[8:9], v[15:16]
	v_add_f64 v[19:20], v[19:20], v[21:22]
	v_fma_f64 v[21:22], v[223:224], s[34:35], -v[25:26]
	v_add_f64 v[11:12], v[11:12], v[13:14]
	v_add_f64 v[146:147], v[146:147], v[152:153]
	v_fma_f64 v[152:153], v[177:178], s[34:35], v[9:10]
	v_fma_f64 v[13:14], v[227:228], s[24:25], v[144:145]
	v_add_f64 v[17:18], v[17:18], v[23:24]
	v_add_f64 v[142:143], v[0:1], v[3:4]
	;; [unrolled: 1-line block ×3, first 2 shown]
	v_fma_f64 v[5:6], v[197:198], s[24:25], -v[5:6]
	buffer_store_dword v140, off, s[64:67], 0 offset:284 ; 4-byte Folded Spill
	s_nop 0
	buffer_store_dword v141, off, s[64:67], 0 offset:288 ; 4-byte Folded Spill
	buffer_store_dword v142, off, s[64:67], 0 offset:292 ; 4-byte Folded Spill
	;; [unrolled: 1-line block ×3, first 2 shown]
	v_add_f64 v[154:155], v[154:155], v[146:147]
	v_add_f64 v[23:24], v[152:153], v[19:20]
	;; [unrolled: 1-line block ×3, first 2 shown]
	v_mul_f64 v[13:14], v[29:30], s[30:31]
	v_mul_f64 v[19:20], v[213:214], s[30:31]
	v_add_f64 v[3:4], v[5:6], v[11:12]
	v_fma_f64 v[5:6], v[223:224], s[34:35], v[25:26]
	v_mul_f64 v[160:161], v[211:212], s[38:39]
	v_add_f64 v[21:22], v[21:22], v[154:155]
	buffer_store_dword v21, off, s[64:67], 0 offset:268 ; 4-byte Folded Spill
	s_nop 0
	buffer_store_dword v22, off, s[64:67], 0 offset:272 ; 4-byte Folded Spill
	buffer_store_dword v23, off, s[64:67], 0 offset:276 ; 4-byte Folded Spill
	;; [unrolled: 1-line block ×3, first 2 shown]
	v_mul_f64 v[21:22], v[181:182], s[54:55]
	v_fma_f64 v[25:26], v[193:194], s[28:29], v[13:14]
	v_mul_f64 v[154:155], v[219:220], s[54:55]
	v_fma_f64 v[156:157], v[209:210], s[28:29], -v[19:20]
	v_fma_f64 v[13:14], v[193:194], s[28:29], -v[13:14]
	v_mul_f64 v[164:165], v[203:204], s[38:39]
	v_mul_f64 v[168:169], v[179:180], s[26:27]
	v_fma_f64 v[170:171], v[191:192], s[22:23], v[160:161]
	v_fma_f64 v[162:163], v[189:190], s[34:35], v[21:22]
	v_add_f64 v[25:26], v[102:103], v[25:26]
	v_fma_f64 v[166:167], v[207:208], s[34:35], -v[154:155]
	v_add_f64 v[156:157], v[100:101], v[156:157]
	v_fma_f64 v[21:22], v[189:190], s[34:35], -v[21:22]
	;; [unrolled: 2-line block ×3, first 2 shown]
	v_mul_f64 v[17:18], v[174:175], s[52:53]
	v_fma_f64 v[160:161], v[191:192], s[22:23], -v[160:161]
	v_add_f64 v[25:26], v[162:163], v[25:26]
	v_mul_f64 v[162:163], v[215:216], s[26:27]
	v_add_f64 v[156:157], v[166:167], v[156:157]
	v_fma_f64 v[166:167], v[187:188], s[18:19], v[168:169]
	v_fma_f64 v[19:20], v[209:210], s[28:29], v[19:20]
	v_add_f64 v[13:14], v[21:22], v[13:14]
	v_mul_f64 v[15:16], v[27:28], s[46:47]
	v_fma_f64 v[158:159], v[185:186], s[8:9], v[17:18]
	v_add_f64 v[21:22], v[170:171], v[25:26]
	v_mul_f64 v[25:26], v[195:196], s[52:53]
	v_fma_f64 v[170:171], v[217:218], s[18:19], -v[162:163]
	v_add_f64 v[156:157], v[172:173], v[156:157]
	v_fma_f64 v[168:169], v[187:188], s[18:19], -v[168:169]
	v_fma_f64 v[154:155], v[207:208], s[34:35], v[154:155]
	v_add_f64 v[19:20], v[100:101], v[19:20]
	v_add_f64 v[13:14], v[160:161], v[13:14]
	;; [unrolled: 1-line block ×3, first 2 shown]
	v_mul_f64 v[160:161], v[221:222], s[46:47]
	v_fma_f64 v[166:167], v[233:234], s[8:9], -v[25:26]
	v_add_f64 v[156:157], v[170:171], v[156:157]
	v_mul_f64 v[11:12], v[199:200], s[20:21]
	v_fma_f64 v[152:153], v[183:184], s[24:25], v[15:16]
	v_fma_f64 v[17:18], v[185:186], s[8:9], -v[17:18]
	v_add_f64 v[19:20], v[154:155], v[19:20]
	v_add_f64 v[13:14], v[168:169], v[13:14]
	;; [unrolled: 1-line block ×3, first 2 shown]
	v_mul_f64 v[168:169], v[229:230], s[20:21]
	v_fma_f64 v[154:155], v[231:232], s[24:25], -v[160:161]
	v_add_f64 v[156:157], v[166:167], v[156:157]
	v_fma_f64 v[0:1], v[177:178], s[34:35], -v[9:10]
	v_mul_f64 v[9:10], v[201:202], s[44:45]
	v_fma_f64 v[23:24], v[197:198], s[16:17], v[11:12]
	v_fma_f64 v[164:165], v[205:206], s[22:23], v[164:165]
	v_fma_f64 v[15:16], v[183:184], s[24:25], -v[15:16]
	v_add_f64 v[13:14], v[17:18], v[13:14]
	v_add_f64 v[17:18], v[152:153], v[21:22]
	v_mul_f64 v[21:22], v[225:226], s[44:45]
	v_fma_f64 v[152:153], v[227:228], s[16:17], -v[168:169]
	v_add_f64 v[154:155], v[154:155], v[156:157]
	v_fma_f64 v[158:159], v[217:218], s[18:19], v[162:163]
	v_add_f64 v[19:20], v[164:165], v[19:20]
	v_add_f64 v[156:157], v[5:6], v[7:8]
	;; [unrolled: 1-line block ×3, first 2 shown]
	v_fma_f64 v[15:16], v[177:178], s[36:37], v[9:10]
	v_add_f64 v[17:18], v[23:24], v[17:18]
	v_fma_f64 v[23:24], v[223:224], s[36:37], -v[21:22]
	v_add_f64 v[152:153], v[152:153], v[154:155]
	v_fma_f64 v[11:12], v[197:198], s[16:17], -v[11:12]
	v_add_f64 v[19:20], v[158:159], v[19:20]
	v_add_f64 v[158:159], v[0:1], v[3:4]
	v_fma_f64 v[25:26], v[233:234], s[8:9], v[25:26]
	v_fma_f64 v[9:10], v[177:178], s[36:37], -v[9:10]
	v_add_f64 v[5:6], v[15:16], v[17:18]
	v_mov_b32_e32 v148, v213
	v_add_f64 v[3:4], v[23:24], v[152:153]
	buffer_store_dword v3, off, s[64:67], 0 offset:300 ; 4-byte Folded Spill
	s_nop 0
	buffer_store_dword v4, off, s[64:67], 0 offset:304 ; 4-byte Folded Spill
	buffer_store_dword v5, off, s[64:67], 0 offset:308 ; 4-byte Folded Spill
	;; [unrolled: 1-line block ×3, first 2 shown]
	v_add_f64 v[11:12], v[11:12], v[13:14]
	v_mul_f64 v[3:4], v[29:30], s[10:11]
	v_mov_b32_e32 v149, v214
	v_fma_f64 v[160:161], v[231:232], s[24:25], v[160:161]
	v_add_f64 v[19:20], v[25:26], v[19:20]
	v_mul_f64 v[7:8], v[181:182], s[58:59]
	v_mul_f64 v[17:18], v[211:212], s[48:49]
	v_mov_b32_e32 v144, v179
	v_add_f64 v[162:163], v[9:10], v[11:12]
	v_mul_f64 v[11:12], v[148:149], s[10:11]
	v_fma_f64 v[13:14], v[193:194], s[34:35], v[3:4]
	v_fma_f64 v[9:10], v[223:224], s[36:37], v[21:22]
	v_add_f64 v[5:6], v[160:161], v[19:20]
	v_fma_f64 v[19:20], v[189:190], s[18:19], v[7:8]
	v_mul_f64 v[21:22], v[219:220], s[58:59]
	v_mov_b32_e32 v145, v180
	v_mul_f64 v[25:26], v[144:145], s[50:51]
	v_fma_f64 v[23:24], v[209:210], s[34:35], -v[11:12]
	v_add_f64 v[13:14], v[102:103], v[13:14]
	v_fma_f64 v[160:161], v[191:192], s[24:25], v[17:18]
	v_mul_f64 v[164:165], v[203:204], s[48:49]
	v_fma_f64 v[3:4], v[193:194], s[34:35], -v[3:4]
	v_fma_f64 v[166:167], v[207:208], s[18:19], -v[21:22]
	v_mov_b32_e32 v142, v174
	v_mov_b32_e32 v143, v175
	v_add_f64 v[23:24], v[100:101], v[23:24]
	v_add_f64 v[13:14], v[19:20], v[13:14]
	v_fma_f64 v[0:1], v[227:228], s[16:17], v[168:169]
	v_mul_f64 v[168:169], v[142:143], s[20:21]
	v_fma_f64 v[170:171], v[187:188], s[36:37], v[25:26]
	v_mul_f64 v[172:173], v[215:216], s[50:51]
	v_fma_f64 v[174:175], v[205:206], s[24:25], -v[164:165]
	v_fma_f64 v[7:8], v[189:190], s[18:19], -v[7:8]
	v_add_f64 v[23:24], v[166:167], v[23:24]
	v_add_f64 v[13:14], v[160:161], v[13:14]
	;; [unrolled: 1-line block ×3, first 2 shown]
	v_mov_b32_e32 v141, v28
	v_mov_b32_e32 v140, v27
	v_mul_f64 v[160:161], v[140:141], s[52:53]
	v_fma_f64 v[166:167], v[185:186], s[16:17], v[168:169]
	v_mul_f64 v[241:242], v[195:196], s[20:21]
	v_fma_f64 v[243:244], v[217:218], s[36:37], -v[172:173]
	v_add_f64 v[23:24], v[174:175], v[23:24]
	v_add_f64 v[13:14], v[170:171], v[13:14]
	v_fma_f64 v[17:18], v[191:192], s[24:25], -v[17:18]
	v_add_f64 v[3:4], v[7:8], v[3:4]
	v_mul_f64 v[15:16], v[199:200], s[38:39]
	v_fma_f64 v[170:171], v[183:184], s[8:9], v[160:161]
	v_mul_f64 v[174:175], v[221:222], s[52:53]
	v_fma_f64 v[245:246], v[233:234], s[16:17], -v[241:242]
	v_fma_f64 v[11:12], v[209:210], s[34:35], v[11:12]
	v_add_f64 v[7:8], v[243:244], v[23:24]
	v_add_f64 v[13:14], v[166:167], v[13:14]
	v_fma_f64 v[25:26], v[187:188], s[36:37], -v[25:26]
	v_add_f64 v[3:4], v[17:18], v[3:4]
	v_add_f64 v[0:1], v[0:1], v[5:6]
	v_mul_f64 v[5:6], v[201:202], s[30:31]
	v_fma_f64 v[19:20], v[197:198], s[22:23], v[15:16]
	v_mul_f64 v[23:24], v[229:230], s[38:39]
	v_fma_f64 v[166:167], v[231:232], s[8:9], -v[174:175]
	v_fma_f64 v[21:22], v[207:208], s[18:19], v[21:22]
	v_add_f64 v[11:12], v[100:101], v[11:12]
	v_add_f64 v[7:8], v[245:246], v[7:8]
	;; [unrolled: 1-line block ×3, first 2 shown]
	v_fma_f64 v[168:169], v[185:186], s[16:17], -v[168:169]
	v_add_f64 v[3:4], v[25:26], v[3:4]
	v_mul_f64 v[17:18], v[225:226], s[30:31]
	v_fma_f64 v[170:171], v[227:228], s[22:23], -v[23:24]
	v_fma_f64 v[164:165], v[205:206], s[24:25], v[164:165]
	v_add_f64 v[11:12], v[21:22], v[11:12]
	v_add_f64 v[7:8], v[166:167], v[7:8]
	v_fma_f64 v[21:22], v[177:178], s[28:29], v[5:6]
	v_add_f64 v[13:14], v[19:20], v[13:14]
	v_fma_f64 v[25:26], v[183:184], s[8:9], -v[160:161]
	v_add_f64 v[3:4], v[168:169], v[3:4]
	v_fma_f64 v[19:20], v[223:224], s[28:29], -v[17:18]
	v_fma_f64 v[172:173], v[217:218], s[36:37], v[172:173]
	v_add_f64 v[11:12], v[164:165], v[11:12]
	v_add_f64 v[7:8], v[170:171], v[7:8]
	;; [unrolled: 1-line block ×4, first 2 shown]
	v_fma_f64 v[0:1], v[197:198], s[22:23], -v[15:16]
	v_mul_f64 v[13:14], v[29:30], s[42:43]
	v_add_f64 v[3:4], v[25:26], v[3:4]
	v_mul_f64 v[15:16], v[148:149], s[42:43]
	v_fma_f64 v[9:10], v[233:234], s[16:17], v[241:242]
	v_add_f64 v[11:12], v[172:173], v[11:12]
	v_add_f64 v[164:165], v[19:20], v[7:8]
	v_mul_f64 v[19:20], v[181:182], s[20:21]
	v_fma_f64 v[7:8], v[231:232], s[8:9], v[174:175]
	v_fma_f64 v[21:22], v[193:194], s[8:9], v[13:14]
	v_add_f64 v[0:1], v[0:1], v[3:4]
	v_fma_f64 v[3:4], v[227:228], s[22:23], v[23:24]
	v_mul_f64 v[23:24], v[219:220], s[20:21]
	v_fma_f64 v[25:26], v[209:210], s[8:9], -v[15:16]
	v_fma_f64 v[13:14], v[193:194], s[8:9], -v[13:14]
	v_add_f64 v[9:10], v[9:10], v[11:12]
	v_mul_f64 v[11:12], v[211:212], s[54:55]
	v_fma_f64 v[168:169], v[189:190], s[16:17], v[19:20]
	v_add_f64 v[21:22], v[102:103], v[21:22]
	v_mul_f64 v[170:171], v[203:204], s[54:55]
	v_fma_f64 v[172:173], v[207:208], s[16:17], -v[23:24]
	v_add_f64 v[25:26], v[100:101], v[25:26]
	v_fma_f64 v[19:20], v[189:190], s[16:17], -v[19:20]
	v_add_f64 v[13:14], v[102:103], v[13:14]
	v_add_f64 v[7:8], v[7:8], v[9:10]
	v_fma_f64 v[9:10], v[223:224], s[28:29], v[17:18]
	v_mul_f64 v[17:18], v[144:145], s[40:41]
	v_fma_f64 v[174:175], v[191:192], s[34:35], v[11:12]
	v_add_f64 v[21:22], v[168:169], v[21:22]
	v_mul_f64 v[241:242], v[215:216], s[40:41]
	v_fma_f64 v[168:169], v[205:206], s[34:35], -v[170:171]
	v_add_f64 v[25:26], v[172:173], v[25:26]
	v_fma_f64 v[11:12], v[191:192], s[34:35], -v[11:12]
	v_add_f64 v[13:14], v[19:20], v[13:14]
	v_add_f64 v[3:4], v[3:4], v[7:8]
	v_mul_f64 v[7:8], v[142:143], s[50:51]
	v_fma_f64 v[172:173], v[187:188], s[22:23], v[17:18]
	v_add_f64 v[21:22], v[174:175], v[21:22]
	v_mul_f64 v[243:244], v[195:196], s[50:51]
	v_fma_f64 v[245:246], v[217:218], s[22:23], -v[241:242]
	v_add_f64 v[25:26], v[168:169], v[25:26]
	v_fma_f64 v[17:18], v[187:188], s[22:23], -v[17:18]
	v_add_f64 v[11:12], v[11:12], v[13:14]
	v_mul_f64 v[174:175], v[140:141], s[26:27]
	v_fma_f64 v[168:169], v[185:186], s[36:37], v[7:8]
	v_add_f64 v[21:22], v[172:173], v[21:22]
	v_mul_f64 v[19:20], v[221:222], s[26:27]
	v_fma_f64 v[247:248], v[233:234], s[36:37], -v[243:244]
	v_add_f64 v[25:26], v[245:246], v[25:26]
	v_fma_f64 v[15:16], v[209:210], s[8:9], v[15:16]
	v_fma_f64 v[7:8], v[185:186], s[36:37], -v[7:8]
	v_add_f64 v[11:12], v[17:18], v[11:12]
	v_fma_f64 v[5:6], v[177:178], s[28:29], -v[5:6]
	v_mul_f64 v[172:173], v[199:200], s[56:57]
	v_fma_f64 v[245:246], v[183:184], s[18:19], v[174:175]
	v_add_f64 v[21:22], v[168:169], v[21:22]
	v_mul_f64 v[13:14], v[229:230], s[56:57]
	v_fma_f64 v[168:169], v[231:232], s[18:19], -v[19:20]
	v_add_f64 v[25:26], v[247:248], v[25:26]
	v_fma_f64 v[23:24], v[207:208], s[16:17], v[23:24]
	v_add_f64 v[15:16], v[100:101], v[15:16]
	v_fma_f64 v[251:252], v[183:184], s[18:19], -v[174:175]
	v_add_f64 v[7:8], v[7:8], v[11:12]
	v_fma_f64 v[247:248], v[197:198], s[28:29], v[172:173]
	v_add_f64 v[21:22], v[245:246], v[21:22]
	v_mul_f64 v[17:18], v[225:226], s[48:49]
	v_fma_f64 v[245:246], v[227:228], s[28:29], -v[13:14]
	v_add_f64 v[25:26], v[168:169], v[25:26]
	v_add_f64 v[174:175], v[5:6], v[0:1]
	v_fma_f64 v[0:1], v[205:206], s[34:35], v[170:171]
	v_add_f64 v[5:6], v[23:24], v[15:16]
	v_fma_f64 v[15:16], v[197:198], s[28:29], -v[172:173]
	v_add_f64 v[7:8], v[251:252], v[7:8]
	v_fma_f64 v[168:169], v[177:178], s[24:25], v[249:250]
	v_add_f64 v[11:12], v[247:248], v[21:22]
	v_fma_f64 v[21:22], v[223:224], s[24:25], -v[17:18]
	v_add_f64 v[25:26], v[245:246], v[25:26]
	v_add_f64 v[172:173], v[9:10], v[3:4]
	v_fma_f64 v[3:4], v[217:218], s[22:23], v[241:242]
	v_mul_f64 v[9:10], v[29:30], s[50:51]
	v_add_f64 v[0:1], v[0:1], v[5:6]
	v_add_f64 v[7:8], v[15:16], v[7:8]
	v_mul_f64 v[15:16], v[148:149], s[50:51]
	v_mov_b32_e32 v150, v219
	v_mov_b32_e32 v151, v220
	v_add_f64 v[170:171], v[168:169], v[11:12]
	v_add_f64 v[168:169], v[21:22], v[25:26]
	v_fma_f64 v[11:12], v[231:232], s[18:19], v[19:20]
	v_fma_f64 v[19:20], v[233:234], s[36:37], v[243:244]
	v_mul_f64 v[21:22], v[181:182], s[30:31]
	v_fma_f64 v[23:24], v[193:194], s[36:37], v[9:10]
	v_add_f64 v[0:1], v[3:4], v[0:1]
	v_mul_f64 v[25:26], v[150:151], s[30:31]
	v_fma_f64 v[3:4], v[209:210], s[36:37], -v[15:16]
	v_mov_b32_e32 v146, v211
	v_mov_b32_e32 v147, v212
	s_mov_b32 s53, 0x3fc7851a
	s_mov_b32 s52, s20
	v_mul_f64 v[241:242], v[146:147], s[52:53]
	v_fma_f64 v[243:244], v[189:190], s[28:29], v[21:22]
	v_add_f64 v[23:24], v[102:103], v[23:24]
	v_add_f64 v[0:1], v[19:20], v[0:1]
	v_mul_f64 v[19:20], v[203:204], s[52:53]
	v_fma_f64 v[245:246], v[207:208], s[28:29], -v[25:26]
	v_add_f64 v[3:4], v[100:101], v[3:4]
	v_fma_f64 v[5:6], v[177:178], s[24:25], -v[249:250]
	v_mul_f64 v[247:248], v[144:145], s[54:55]
	v_fma_f64 v[249:250], v[191:192], s[16:17], v[241:242]
	v_add_f64 v[23:24], v[243:244], v[23:24]
	v_add_f64 v[0:1], v[11:12], v[0:1]
	v_mul_f64 v[11:12], v[215:216], s[54:55]
	v_fma_f64 v[243:244], v[205:206], s[16:17], -v[19:20]
	v_fma_f64 v[9:10], v[193:194], s[36:37], -v[9:10]
	v_add_f64 v[3:4], v[245:246], v[3:4]
	v_mul_f64 v[245:246], v[142:143], s[48:49]
	v_fma_f64 v[251:252], v[187:188], s[34:35], v[247:248]
	v_add_f64 v[23:24], v[249:250], v[23:24]
	v_mul_f64 v[249:250], v[195:196], s[48:49]
	v_fma_f64 v[253:254], v[217:218], s[34:35], -v[11:12]
	v_fma_f64 v[21:22], v[189:190], s[28:29], -v[21:22]
	v_add_f64 v[9:10], v[102:103], v[9:10]
	v_add_f64 v[3:4], v[243:244], v[3:4]
	v_mul_f64 v[243:244], v[140:141], s[38:39]
	v_fma_f64 v[27:28], v[185:186], s[24:25], v[245:246]
	v_add_f64 v[23:24], v[251:252], v[23:24]
	v_mul_f64 v[251:252], v[221:222], s[38:39]
	v_fma_f64 v[179:180], v[233:234], s[24:25], -v[249:250]
	v_fma_f64 v[241:242], v[191:192], s[16:17], -v[241:242]
	v_add_f64 v[9:10], v[21:22], v[9:10]
	v_add_f64 v[3:4], v[253:254], v[3:4]
	v_mov_b32_e32 v236, v200
	v_mov_b32_e32 v235, v199
	v_fma_f64 v[13:14], v[227:228], s[28:29], v[13:14]
	v_mul_f64 v[21:22], v[235:236], s[42:43]
	v_fma_f64 v[253:254], v[183:184], s[22:23], v[243:244]
	v_add_f64 v[23:24], v[27:28], v[23:24]
	v_mul_f64 v[27:28], v[229:230], s[42:43]
	v_fma_f64 v[199:200], v[231:232], s[22:23], -v[251:252]
	v_fma_f64 v[247:248], v[187:188], s[34:35], -v[247:248]
	v_add_f64 v[9:10], v[241:242], v[9:10]
	v_add_f64 v[3:4], v[179:180], v[3:4]
	v_mul_f64 v[179:180], v[237:238], s[26:27]
	v_fma_f64 v[241:242], v[197:198], s[8:9], v[21:22]
	v_add_f64 v[23:24], v[253:254], v[23:24]
	v_fma_f64 v[201:202], v[227:228], s[8:9], -v[27:28]
	v_fma_f64 v[245:246], v[185:186], s[24:25], -v[245:246]
	v_fma_f64 v[17:18], v[223:224], s[24:25], v[17:18]
	v_add_f64 v[9:10], v[247:248], v[9:10]
	v_add_f64 v[3:4], v[199:200], v[3:4]
	;; [unrolled: 1-line block ×3, first 2 shown]
	v_mul_f64 v[253:254], v[225:226], s[26:27]
	v_fma_f64 v[13:14], v[177:178], s[18:19], v[179:180]
	v_add_f64 v[23:24], v[241:242], v[23:24]
	v_fma_f64 v[241:242], v[183:184], s[22:23], -v[243:244]
	v_fma_f64 v[11:12], v[217:218], s[34:35], v[11:12]
	v_add_f64 v[243:244], v[245:246], v[9:10]
	v_add_f64 v[201:202], v[201:202], v[3:4]
	;; [unrolled: 1-line block ×3, first 2 shown]
	v_fma_f64 v[0:1], v[209:210], s[36:37], v[15:16]
	v_fma_f64 v[199:200], v[223:224], s[18:19], -v[253:254]
	v_add_f64 v[154:155], v[13:14], v[23:24]
	v_fma_f64 v[13:14], v[197:198], s[8:9], -v[21:22]
	v_mul_f64 v[15:16], v[29:30], s[46:47]
	v_add_f64 v[17:18], v[241:242], v[243:244]
	v_fma_f64 v[21:22], v[207:208], s[28:29], v[25:26]
	v_mul_f64 v[23:24], v[148:149], s[46:47]
	v_add_f64 v[0:1], v[100:101], v[0:1]
	v_add_f64 v[152:153], v[199:200], v[201:202]
	v_fma_f64 v[25:26], v[177:178], s[18:19], -v[179:180]
	v_mul_f64 v[179:180], v[181:182], s[42:43]
	v_fma_f64 v[199:200], v[193:194], s[24:25], v[15:16]
	v_add_f64 v[13:14], v[13:14], v[17:18]
	v_fma_f64 v[17:18], v[205:206], s[16:17], v[19:20]
	v_mul_f64 v[19:20], v[150:151], s[42:43]
	v_fma_f64 v[201:202], v[209:210], s[24:25], -v[23:24]
	v_add_f64 v[0:1], v[21:22], v[0:1]
	v_fma_f64 v[15:16], v[193:194], s[24:25], -v[15:16]
	v_mul_f64 v[21:22], v[146:147], s[30:31]
	v_fma_f64 v[241:242], v[189:190], s[8:9], v[179:180]
	v_add_f64 v[199:200], v[102:103], v[199:200]
	v_mul_f64 v[243:244], v[203:204], s[30:31]
	v_fma_f64 v[245:246], v[207:208], s[8:9], -v[19:20]
	v_add_f64 v[201:202], v[100:101], v[201:202]
	v_add_f64 v[0:1], v[17:18], v[0:1]
	;; [unrolled: 1-line block ×3, first 2 shown]
	v_fma_f64 v[25:26], v[189:190], s[8:9], -v[179:180]
	v_add_f64 v[15:16], v[102:103], v[15:16]
	v_mul_f64 v[17:18], v[144:145], s[20:21]
	v_fma_f64 v[247:248], v[191:192], s[28:29], v[21:22]
	v_add_f64 v[199:200], v[241:242], v[199:200]
	v_fma_f64 v[241:242], v[233:234], s[24:25], v[249:250]
	v_fma_f64 v[211:212], v[205:206], s[28:29], -v[243:244]
	v_add_f64 v[201:202], v[245:246], v[201:202]
	v_add_f64 v[0:1], v[11:12], v[0:1]
	v_fma_f64 v[23:24], v[209:210], s[24:25], v[23:24]
	v_fma_f64 v[21:22], v[191:192], s[28:29], -v[21:22]
	v_add_f64 v[15:16], v[25:26], v[15:16]
	v_mul_f64 v[249:250], v[215:216], s[20:21]
	v_mul_f64 v[245:246], v[142:143], s[58:59]
	v_fma_f64 v[11:12], v[187:188], s[16:17], v[17:18]
	v_add_f64 v[199:200], v[247:248], v[199:200]
	v_fma_f64 v[247:248], v[231:232], s[22:23], v[251:252]
	v_add_f64 v[201:202], v[211:212], v[201:202]
	v_add_f64 v[0:1], v[241:242], v[0:1]
	v_mul_f64 v[211:212], v[140:141], s[54:55]
	v_fma_f64 v[19:20], v[207:208], s[8:9], v[19:20]
	v_add_f64 v[23:24], v[100:101], v[23:24]
	v_fma_f64 v[17:18], v[187:188], s[16:17], -v[17:18]
	v_add_f64 v[15:16], v[21:22], v[15:16]
	v_add_f64 v[106:107], v[102:103], v[106:107]
	;; [unrolled: 1-line block ×3, first 2 shown]
	v_mul_f64 v[251:252], v[195:196], s[58:59]
	v_fma_f64 v[213:214], v[217:218], s[16:17], -v[249:250]
	v_add_f64 v[0:1], v[247:248], v[0:1]
	v_fma_f64 v[247:248], v[183:184], s[34:35], v[211:212]
	v_fma_f64 v[25:26], v[183:184], s[34:35], -v[211:212]
	v_fma_f64 v[211:212], v[185:186], s[18:19], -v[245:246]
	v_fma_f64 v[21:22], v[205:206], s[28:29], v[243:244]
	v_add_f64 v[19:20], v[19:20], v[23:24]
	v_add_f64 v[15:16], v[17:18], v[15:16]
	v_add_f64 v[106:107], v[106:107], v[110:111]
	v_add_f64 v[104:105], v[104:105], v[108:109]
	v_fma_f64 v[241:242], v[185:186], s[18:19], v[245:246]
	v_add_f64 v[11:12], v[11:12], v[199:200]
	v_fma_f64 v[27:28], v[227:228], s[8:9], v[27:28]
	v_fma_f64 v[219:220], v[233:234], s[18:19], -v[251:252]
	v_add_f64 v[201:202], v[213:214], v[201:202]
	v_mul_f64 v[213:214], v[235:236], s[44:45]
	v_fma_f64 v[17:18], v[217:218], s[16:17], v[249:250]
	v_add_f64 v[19:20], v[21:22], v[19:20]
	v_add_f64 v[15:16], v[211:212], v[15:16]
	;; [unrolled: 1-line block ×4, first 2 shown]
	v_mul_f64 v[199:200], v[221:222], s[54:55]
	v_add_f64 v[11:12], v[241:242], v[11:12]
	v_fma_f64 v[241:242], v[223:224], s[18:19], v[253:254]
	v_add_f64 v[201:202], v[219:220], v[201:202]
	v_add_f64 v[0:1], v[27:28], v[0:1]
	v_mul_f64 v[27:28], v[237:238], s[40:41]
	v_fma_f64 v[219:220], v[197:198], s[36:37], v[213:214]
	v_fma_f64 v[213:214], v[197:198], s[36:37], -v[213:214]
	v_fma_f64 v[211:212], v[233:234], s[18:19], v[251:252]
	v_add_f64 v[17:18], v[17:18], v[19:20]
	v_add_f64 v[15:16], v[25:26], v[15:16]
	;; [unrolled: 1-line block ×6, first 2 shown]
	v_fma_f64 v[0:1], v[177:178], s[22:23], v[27:28]
	v_fma_f64 v[27:28], v[177:178], s[22:23], -v[27:28]
	v_fma_f64 v[25:26], v[231:232], s[34:35], v[199:200]
	v_add_f64 v[17:18], v[211:212], v[17:18]
	v_add_f64 v[15:16], v[213:214], v[15:16]
	;; [unrolled: 1-line block ×4, first 2 shown]
	v_mov_b32_e32 v9, v235
	v_mov_b32_e32 v10, v236
	v_mul_f64 v[253:254], v[229:230], s[44:45]
	v_fma_f64 v[235:236], v[231:232], s[34:35], -v[199:200]
	v_mul_f64 v[29:30], v[29:30], s[38:39]
	v_add_f64 v[25:26], v[25:26], v[17:18]
	v_add_f64 v[17:18], v[27:28], v[15:16]
	;; [unrolled: 1-line block ×4, first 2 shown]
	v_mul_f64 v[181:182], v[181:182], s[46:47]
	v_fma_f64 v[239:240], v[227:228], s[36:37], -v[253:254]
	v_add_f64 v[201:202], v[235:236], v[201:202]
	v_fma_f64 v[235:236], v[193:194], s[22:23], v[29:30]
	v_mul_f64 v[120:121], v[148:149], s[38:39]
	v_mul_f64 v[23:24], v[146:147], s[50:51]
	v_add_f64 v[27:28], v[27:28], v[130:131]
	v_add_f64 v[104:105], v[104:105], v[128:129]
	v_fma_f64 v[29:30], v[193:194], s[22:23], -v[29:30]
	v_mul_f64 v[128:129], v[150:151], s[46:47]
	v_add_f64 v[201:202], v[239:240], v[201:202]
	v_fma_f64 v[239:240], v[189:190], s[24:25], v[181:182]
	v_add_f64 v[235:236], v[102:103], v[235:236]
	v_fma_f64 v[130:131], v[209:210], s[22:23], v[120:121]
	v_add_f64 v[27:28], v[27:28], v[134:135]
	v_add_f64 v[104:105], v[104:105], v[132:133]
	v_mul_f64 v[21:22], v[144:145], s[42:43]
	v_fma_f64 v[108:109], v[191:192], s[36:37], v[23:24]
	v_mul_f64 v[132:133], v[203:204], s[50:51]
	v_fma_f64 v[120:121], v[209:210], s[22:23], -v[120:121]
	v_add_f64 v[110:111], v[239:240], v[235:236]
	v_fma_f64 v[134:135], v[189:190], s[24:25], -v[181:182]
	v_add_f64 v[29:30], v[102:103], v[29:30]
	v_fma_f64 v[102:103], v[207:208], s[24:25], v[128:129]
	v_add_f64 v[27:28], v[27:28], v[138:139]
	v_add_f64 v[104:105], v[104:105], v[136:137]
	;; [unrolled: 1-line block ×3, first 2 shown]
	v_mul_f64 v[19:20], v[142:143], s[10:11]
	v_fma_f64 v[112:113], v[187:188], s[8:9], v[21:22]
	v_add_f64 v[108:109], v[108:109], v[110:111]
	v_mul_f64 v[126:127], v[215:216], s[42:43]
	v_fma_f64 v[128:129], v[207:208], s[24:25], -v[128:129]
	v_add_f64 v[100:101], v[100:101], v[120:121]
	v_fma_f64 v[23:24], v[191:192], s[36:37], -v[23:24]
	v_add_f64 v[29:30], v[134:135], v[29:30]
	v_fma_f64 v[120:121], v[205:206], s[36:37], v[132:133]
	v_add_f64 v[27:28], v[27:28], v[57:58]
	v_add_f64 v[104:105], v[104:105], v[55:56]
	v_add_f64 v[102:103], v[102:103], v[130:131]
	v_mul_f64 v[110:111], v[140:141], s[30:31]
	v_fma_f64 v[114:115], v[185:186], s[34:35], v[19:20]
	v_add_f64 v[108:109], v[112:113], v[108:109]
	v_mul_f64 v[124:125], v[195:196], s[10:11]
	v_fma_f64 v[130:131], v[205:206], s[36:37], -v[132:133]
	v_add_f64 v[100:101], v[128:129], v[100:101]
	v_fma_f64 v[21:22], v[187:188], s[8:9], -v[21:22]
	v_add_f64 v[23:24], v[23:24], v[29:30]
	v_fma_f64 v[29:30], v[217:218], s[8:9], v[126:127]
	v_add_f64 v[27:28], v[27:28], v[53:54]
	v_add_f64 v[104:105], v[104:105], v[51:52]
	;; [unrolled: 1-line block ×3, first 2 shown]
	v_fma_f64 v[118:119], v[183:184], s[28:29], v[110:111]
	v_add_f64 v[108:109], v[114:115], v[108:109]
	v_mul_f64 v[122:123], v[221:222], s[30:31]
	v_fma_f64 v[120:121], v[217:218], s[8:9], -v[126:127]
	v_add_f64 v[100:101], v[130:131], v[100:101]
	v_fma_f64 v[19:20], v[185:186], s[34:35], -v[19:20]
	v_add_f64 v[21:22], v[21:22], v[23:24]
	v_fma_f64 v[23:24], v[233:234], s[34:35], v[124:125]
	v_add_f64 v[27:28], v[27:28], v[49:50]
	v_add_f64 v[104:105], v[104:105], v[47:48]
	;; [unrolled: 1-line block ×3, first 2 shown]
	v_fma_f64 v[112:113], v[227:228], s[36:37], v[253:254]
	v_mul_f64 v[116:117], v[9:10], s[26:27]
	v_add_f64 v[108:109], v[118:119], v[108:109]
	v_mul_f64 v[118:119], v[229:230], s[26:27]
	v_fma_f64 v[102:103], v[233:234], s[34:35], -v[124:125]
	v_add_f64 v[100:101], v[120:121], v[100:101]
	v_fma_f64 v[110:111], v[183:184], s[28:29], -v[110:111]
	v_add_f64 v[19:20], v[19:20], v[21:22]
	v_fma_f64 v[21:22], v[231:232], s[28:29], v[122:123]
	v_add_f64 v[27:28], v[27:28], v[45:46]
	v_add_f64 v[104:105], v[104:105], v[43:44]
	;; [unrolled: 1-line block ×4, first 2 shown]
	v_mov_b32_e32 v7, v237
	v_mov_b32_e32 v8, v238
	v_add_f64 v[106:107], v[112:113], v[25:26]
	v_mul_f64 v[25:26], v[7:8], s[20:21]
	v_mul_f64 v[114:115], v[225:226], s[20:21]
	v_fma_f64 v[29:30], v[231:232], s[28:29], -v[122:123]
	v_add_f64 v[100:101], v[102:103], v[100:101]
	v_fma_f64 v[102:103], v[197:198], s[18:19], -v[116:117]
	v_add_f64 v[19:20], v[110:111], v[19:20]
	v_fma_f64 v[110:111], v[227:228], s[18:19], v[118:119]
	v_add_f64 v[27:28], v[27:28], v[41:42]
	v_add_f64 v[104:105], v[104:105], v[39:40]
	;; [unrolled: 1-line block ×4, first 2 shown]
	v_fma_f64 v[23:24], v[227:228], s[18:19], -v[118:119]
	v_add_f64 v[29:30], v[29:30], v[100:101]
	v_fma_f64 v[100:101], v[177:178], s[16:17], -v[25:26]
	v_add_f64 v[19:20], v[102:103], v[19:20]
	v_fma_f64 v[102:103], v[223:224], s[16:17], v[114:115]
	v_add_f64 v[27:28], v[27:28], v[37:38]
	v_add_f64 v[104:105], v[104:105], v[35:36]
	;; [unrolled: 1-line block ×3, first 2 shown]
	v_fma_f64 v[112:113], v[197:198], s[18:19], v[116:117]
	buffer_load_dword v54, off, s[64:67], 0 offset:188 ; 4-byte Folded Reload
	buffer_load_dword v55, off, s[64:67], 0 offset:192 ; 4-byte Folded Reload
	;; [unrolled: 1-line block ×16, first 2 shown]
	v_fma_f64 v[116:117], v[177:178], s[16:17], v[25:26]
	v_add_f64 v[29:30], v[23:24], v[29:30]
	v_add_f64 v[21:22], v[100:101], v[19:20]
	v_add_f64 v[25:26], v[27:28], v[33:34]
	v_add_f64 v[23:24], v[104:105], v[31:32]
	buffer_load_dword v31, off, s[64:67], 0 offset:156 ; 4-byte Folded Reload
	buffer_load_dword v32, off, s[64:67], 0 offset:160 ; 4-byte Folded Reload
	;; [unrolled: 1-line block ×4, first 2 shown]
	v_add_f64 v[19:20], v[102:103], v[110:111]
	v_add_f64 v[102:103], v[0:1], v[219:220]
	buffer_load_dword v0, off, s[64:67], 0 offset:120 ; 4-byte Folded Reload
	v_mul_f64 v[237:238], v[225:226], s[40:41]
	v_add_f64 v[108:109], v[112:113], v[108:109]
	v_fma_f64 v[112:113], v[223:224], s[16:17], -v[114:115]
	v_mov_b32_e32 v178, v59
	v_fma_f64 v[15:16], v[223:224], s[22:23], v[237:238]
	v_fma_f64 v[179:180], v[223:224], s[22:23], -v[237:238]
	v_add_f64 v[104:105], v[112:113], v[29:30]
	v_add_f64 v[15:16], v[15:16], v[106:107]
	;; [unrolled: 1-line block ×4, first 2 shown]
	s_waitcnt vmcnt(0)
	v_lshlrev_b32_e32 v0, 4, v0
	ds_write_b128 v0, v[23:26]
	ds_write_b128 v0, v[19:22] offset:16
	ds_write_b128 v0, v[15:18] offset:32
	;; [unrolled: 1-line block ×7, first 2 shown]
	buffer_load_dword v3, off, s[64:67], 0 offset:284 ; 4-byte Folded Reload
	buffer_load_dword v4, off, s[64:67], 0 offset:288 ; 4-byte Folded Reload
	buffer_load_dword v5, off, s[64:67], 0 offset:292 ; 4-byte Folded Reload
	buffer_load_dword v6, off, s[64:67], 0 offset:296 ; 4-byte Folded Reload
	s_waitcnt vmcnt(0)
	ds_write_b128 v0, v[3:6] offset:128
	buffer_load_dword v148, off, s[64:67], 0 offset:236 ; 4-byte Folded Reload
	buffer_load_dword v149, off, s[64:67], 0 offset:240 ; 4-byte Folded Reload
	buffer_load_dword v150, off, s[64:67], 0 offset:244 ; 4-byte Folded Reload
	buffer_load_dword v151, off, s[64:67], 0 offset:248 ; 4-byte Folded Reload
	buffer_load_dword v3, off, s[64:67], 0 offset:252 ; 4-byte Folded Reload
	buffer_load_dword v4, off, s[64:67], 0 offset:256 ; 4-byte Folded Reload
	buffer_load_dword v5, off, s[64:67], 0 offset:260 ; 4-byte Folded Reload
	buffer_load_dword v6, off, s[64:67], 0 offset:264 ; 4-byte Folded Reload
	s_waitcnt vmcnt(0)
	ds_write_b128 v0, v[3:6] offset:144
	buffer_load_dword v140, off, s[64:67], 0 offset:204 ; 4-byte Folded Reload
	buffer_load_dword v141, off, s[64:67], 0 offset:208 ; 4-byte Folded Reload
	buffer_load_dword v142, off, s[64:67], 0 offset:212 ; 4-byte Folded Reload
	buffer_load_dword v143, off, s[64:67], 0 offset:216 ; 4-byte Folded Reload
	;; [unrolled: 10-line block ×3, first 2 shown]
	buffer_load_dword v3, off, s[64:67], 0 offset:300 ; 4-byte Folded Reload
	buffer_load_dword v4, off, s[64:67], 0 offset:304 ; 4-byte Folded Reload
	;; [unrolled: 1-line block ×4, first 2 shown]
	s_waitcnt vmcnt(0)
	ds_write_b128 v0, v[3:6] offset:176
	ds_write_b128 v0, v[164:167] offset:192
	ds_write_b128 v0, v[168:171] offset:208
	ds_write_b128 v0, v[152:155] offset:224
	ds_write_b128 v0, v[100:103] offset:240
	ds_write_b128 v0, v[104:107] offset:256
.LBB0_13:
	s_or_b64 exec, exec, s[2:3]
	s_waitcnt lgkmcnt(0)
	s_barrier
	ds_read_b128 v[3:6], v255
	ds_read_b128 v[7:10], v255 offset:2720
	ds_read_b128 v[11:14], v255 offset:5440
	;; [unrolled: 1-line block ×5, first 2 shown]
	s_waitcnt lgkmcnt(4)
	v_mul_f64 v[0:1], v[56:57], v[9:10]
	v_mul_f64 v[27:28], v[56:57], v[7:8]
	s_waitcnt lgkmcnt(3)
	v_mul_f64 v[29:30], v[33:34], v[13:14]
	v_mul_f64 v[38:39], v[33:34], v[11:12]
	ds_read_b128 v[100:103], v255 offset:16320
	ds_read_b128 v[104:107], v255 offset:19040
	ds_read_b128 v[108:111], v255 offset:21760
	ds_read_b128 v[112:115], v255 offset:24480
	s_waitcnt lgkmcnt(5)
	v_mul_f64 v[34:35], v[42:43], v[19:20]
	s_waitcnt lgkmcnt(4)
	v_mul_f64 v[36:37], v[150:151], v[25:26]
	v_fma_f64 v[0:1], v[54:55], v[7:8], v[0:1]
	v_fma_f64 v[7:8], v[54:55], v[9:10], -v[27:28]
	v_mul_f64 v[9:10], v[46:47], v[17:18]
	v_mul_f64 v[27:28], v[46:47], v[15:16]
	v_fma_f64 v[11:12], v[31:32], v[11:12], v[29:30]
	v_mul_f64 v[29:30], v[42:43], v[21:22]
	v_fma_f64 v[13:14], v[31:32], v[13:14], -v[38:39]
	s_waitcnt lgkmcnt(3)
	v_mul_f64 v[38:39], v[142:143], v[102:103]
	s_waitcnt lgkmcnt(1)
	v_mul_f64 v[31:32], v[146:147], v[108:109]
	v_fma_f64 v[21:22], v[40:41], v[21:22], -v[34:35]
	v_fma_f64 v[9:10], v[44:45], v[15:16], v[9:10]
	v_fma_f64 v[15:16], v[44:45], v[17:18], -v[27:28]
	v_mul_f64 v[17:18], v[150:151], v[23:24]
	v_fma_f64 v[19:20], v[40:41], v[19:20], v[29:30]
	v_mul_f64 v[33:34], v[146:147], v[110:111]
	v_fma_f64 v[29:30], v[140:141], v[100:101], v[38:39]
	v_fma_f64 v[31:32], v[144:145], v[110:111], -v[31:32]
	v_fma_f64 v[23:24], v[148:149], v[23:24], v[36:37]
	v_mul_f64 v[35:36], v[52:53], v[106:107]
	v_mul_f64 v[37:38], v[52:53], v[104:105]
	v_fma_f64 v[17:18], v[148:149], v[25:26], -v[17:18]
	v_mul_f64 v[25:26], v[142:143], v[100:101]
	v_fma_f64 v[33:34], v[144:145], v[108:109], v[33:34]
	v_add_f64 v[42:43], v[19:20], v[29:30]
	s_waitcnt lgkmcnt(0)
	v_mul_f64 v[44:45], v[62:63], v[114:115]
	v_mul_f64 v[46:47], v[62:63], v[112:113]
	v_add_f64 v[48:49], v[13:14], -v[31:32]
	s_mov_b32 s2, 0x134454ff
	s_mov_b32 s3, 0xbfee6f0e
	v_fma_f64 v[25:26], v[140:141], v[102:103], -v[25:26]
	v_add_f64 v[27:28], v[3:4], v[11:12]
	v_fma_f64 v[42:43], v[42:43], -0.5, v[3:4]
	v_fma_f64 v[35:36], v[50:51], v[104:105], v[35:36]
	v_fma_f64 v[37:38], v[50:51], v[106:107], -v[37:38]
	v_fma_f64 v[39:40], v[60:61], v[112:113], v[44:45]
	v_fma_f64 v[44:45], v[60:61], v[114:115], -v[46:47]
	v_add_f64 v[46:47], v[11:12], v[33:34]
	v_add_f64 v[52:53], v[21:22], -v[25:26]
	v_add_f64 v[54:55], v[11:12], -v[19:20]
	v_fma_f64 v[50:51], v[48:49], s[2:3], v[42:43]
	v_add_f64 v[56:57], v[33:34], -v[29:30]
	s_mov_b32 s16, 0x4755a5e
	s_mov_b32 s9, 0x3fee6f0e
	;; [unrolled: 1-line block ×4, first 2 shown]
	v_add_f64 v[27:28], v[27:28], v[19:20]
	v_fma_f64 v[41:42], v[48:49], s[8:9], v[42:43]
	v_fma_f64 v[3:4], v[46:47], -0.5, v[3:4]
	v_fma_f64 v[46:47], v[52:53], s[16:17], v[50:51]
	v_add_f64 v[50:51], v[54:55], v[56:57]
	v_add_f64 v[54:55], v[21:22], v[25:26]
	s_mov_b32 s11, 0x3fe2cf23
	s_mov_b32 s10, s16
	v_add_f64 v[27:28], v[27:28], v[29:30]
	v_fma_f64 v[41:42], v[52:53], s[10:11], v[41:42]
	v_fma_f64 v[56:57], v[52:53], s[8:9], v[3:4]
	v_add_f64 v[58:59], v[19:20], -v[11:12]
	v_add_f64 v[60:61], v[29:30], -v[33:34]
	v_add_f64 v[62:63], v[5:6], v[13:14]
	v_fma_f64 v[54:55], v[54:55], -0.5, v[5:6]
	v_add_f64 v[11:12], v[11:12], -v[33:34]
	v_fma_f64 v[3:4], v[52:53], s[2:3], v[3:4]
	s_mov_b32 s18, 0x372fe950
	s_mov_b32 s19, 0x3fd3c6ef
	v_add_f64 v[27:28], v[27:28], v[33:34]
	v_fma_f64 v[33:34], v[50:51], s[18:19], v[46:47]
	v_fma_f64 v[41:42], v[50:51], s[18:19], v[41:42]
	;; [unrolled: 1-line block ×3, first 2 shown]
	v_add_f64 v[50:51], v[58:59], v[60:61]
	v_add_f64 v[52:53], v[62:63], v[21:22]
	v_fma_f64 v[56:57], v[11:12], s[8:9], v[54:55]
	v_add_f64 v[19:20], v[19:20], -v[29:30]
	v_add_f64 v[29:30], v[13:14], -v[21:22]
	;; [unrolled: 1-line block ×3, first 2 shown]
	v_fma_f64 v[54:55], v[11:12], s[2:3], v[54:55]
	v_add_f64 v[60:61], v[13:14], v[31:32]
	v_fma_f64 v[3:4], v[48:49], s[10:11], v[3:4]
	v_add_f64 v[48:49], v[52:53], v[25:26]
	;; [unrolled: 2-line block ×4, first 2 shown]
	v_fma_f64 v[54:55], v[19:20], s[16:17], v[54:55]
	v_fma_f64 v[5:6], v[60:61], -0.5, v[5:6]
	v_fma_f64 v[50:51], v[50:51], s[18:19], v[3:4]
	v_add_f64 v[3:4], v[0:1], v[9:10]
	v_add_f64 v[58:59], v[15:16], -v[44:45]
	v_fma_f64 v[52:53], v[52:53], -0.5, v[0:1]
	v_add_f64 v[13:14], v[21:22], -v[13:14]
	v_fma_f64 v[56:57], v[29:30], s[18:19], v[56:57]
	v_fma_f64 v[54:55], v[29:30], s[18:19], v[54:55]
	;; [unrolled: 1-line block ×3, first 2 shown]
	v_add_f64 v[21:22], v[25:26], -v[31:32]
	v_add_f64 v[3:4], v[3:4], v[23:24]
	v_add_f64 v[48:49], v[48:49], v[31:32]
	v_fma_f64 v[5:6], v[19:20], s[8:9], v[5:6]
	v_fma_f64 v[19:20], v[58:59], s[2:3], v[52:53]
	v_add_f64 v[25:26], v[17:18], -v[37:38]
	v_add_f64 v[31:32], v[9:10], -v[23:24]
	;; [unrolled: 1-line block ×3, first 2 shown]
	v_fma_f64 v[29:30], v[11:12], s[10:11], v[29:30]
	v_add_f64 v[100:101], v[17:18], v[37:38]
	v_add_f64 v[13:14], v[13:14], v[21:22]
	;; [unrolled: 1-line block ×4, first 2 shown]
	v_fma_f64 v[5:6], v[11:12], s[16:17], v[5:6]
	v_fma_f64 v[11:12], v[25:26], s[16:17], v[19:20]
	v_add_f64 v[19:20], v[31:32], v[60:61]
	v_fma_f64 v[21:22], v[58:59], s[8:9], v[52:53]
	v_fma_f64 v[31:32], v[100:101], -0.5, v[7:8]
	v_add_f64 v[52:53], v[9:10], -v[39:40]
	v_fma_f64 v[60:61], v[13:14], s[18:19], v[29:30]
	v_add_f64 v[29:30], v[3:4], v[39:40]
	v_add_f64 v[3:4], v[15:16], v[44:45]
	v_fma_f64 v[0:1], v[62:63], -0.5, v[0:1]
	v_fma_f64 v[62:63], v[13:14], s[18:19], v[5:6]
	v_fma_f64 v[13:14], v[25:26], s[10:11], v[21:22]
	v_add_f64 v[100:101], v[23:24], -v[35:36]
	v_fma_f64 v[21:22], v[52:53], s[8:9], v[31:32]
	v_add_f64 v[102:103], v[15:16], -v[17:18]
	v_add_f64 v[104:105], v[44:45], -v[37:38]
	v_fma_f64 v[3:4], v[3:4], -0.5, v[7:8]
	v_add_f64 v[7:8], v[7:8], v[15:16]
	v_fma_f64 v[5:6], v[25:26], s[8:9], v[0:1]
	v_add_f64 v[9:10], v[23:24], -v[9:10]
	v_add_f64 v[23:24], v[35:36], -v[39:40]
	v_fma_f64 v[0:1], v[25:26], s[2:3], v[0:1]
	v_fma_f64 v[21:22], v[100:101], s[10:11], v[21:22]
	v_add_f64 v[25:26], v[102:103], v[104:105]
	v_fma_f64 v[35:36], v[100:101], s[2:3], v[3:4]
	v_add_f64 v[15:16], v[17:18], -v[15:16]
	v_add_f64 v[39:40], v[37:38], -v[44:45]
	v_fma_f64 v[3:4], v[100:101], s[8:9], v[3:4]
	v_add_f64 v[7:8], v[7:8], v[17:18]
	v_fma_f64 v[17:18], v[52:53], s[2:3], v[31:32]
	v_fma_f64 v[5:6], v[58:59], s[16:17], v[5:6]
	v_add_f64 v[9:10], v[9:10], v[23:24]
	v_fma_f64 v[0:1], v[58:59], s[10:11], v[0:1]
	v_fma_f64 v[21:22], v[25:26], s[18:19], v[21:22]
	;; [unrolled: 1-line block ×3, first 2 shown]
	v_add_f64 v[15:16], v[15:16], v[39:40]
	v_fma_f64 v[3:4], v[52:53], s[16:17], v[3:4]
	v_add_f64 v[7:8], v[7:8], v[37:38]
	v_fma_f64 v[17:18], v[100:101], s[16:17], v[17:18]
	v_fma_f64 v[11:12], v[19:20], s[18:19], v[11:12]
	;; [unrolled: 1-line block ×5, first 2 shown]
	v_mul_f64 v[9:10], v[21:22], s[16:17]
	v_fma_f64 v[19:20], v[15:16], s[18:19], v[23:24]
	v_fma_f64 v[15:16], v[15:16], s[18:19], v[3:4]
	v_add_f64 v[37:38], v[7:8], v[44:45]
	v_fma_f64 v[7:8], v[25:26], s[18:19], v[17:18]
	s_mov_b32 s22, 0x9b97f4a8
	s_mov_b32 s23, 0x3fe9e377
	v_mul_f64 v[21:22], v[21:22], s[22:23]
	v_fma_f64 v[25:26], v[11:12], s[22:23], v[9:10]
	v_mul_f64 v[9:10], v[19:20], s[2:3]
	s_mov_b32 s21, 0xbfd3c6ef
	s_mov_b32 s20, s18
	v_mul_f64 v[19:20], v[19:20], s[18:19]
	v_mul_f64 v[17:18], v[15:16], s[2:3]
	s_mov_b32 s25, 0xbfe9e377
	s_mov_b32 s24, s22
	v_mul_f64 v[15:16], v[15:16], s[20:21]
	v_mul_f64 v[23:24], v[7:8], s[16:17]
	;; [unrolled: 1-line block ×3, first 2 shown]
	v_fma_f64 v[52:53], v[11:12], s[10:11], v[21:22]
	v_fma_f64 v[35:36], v[5:6], s[18:19], v[9:10]
	;; [unrolled: 1-line block ×4, first 2 shown]
	v_add_f64 v[3:4], v[27:28], v[29:30]
	v_fma_f64 v[0:1], v[0:1], s[8:9], v[15:16]
	v_fma_f64 v[43:44], v[13:14], s[24:25], v[23:24]
	;; [unrolled: 1-line block ×3, first 2 shown]
	v_add_f64 v[5:6], v[48:49], v[37:38]
	v_add_f64 v[7:8], v[33:34], v[25:26]
	v_add_f64 v[9:10], v[56:57], v[52:53]
	v_add_f64 v[11:12], v[46:47], v[35:36]
	v_add_f64 v[13:14], v[60:61], v[58:59]
	v_add_f64 v[15:16], v[50:51], v[39:40]
	v_add_f64 v[17:18], v[62:63], v[0:1]
	v_add_f64 v[19:20], v[41:42], v[43:44]
	v_add_f64 v[21:22], v[54:55], v[100:101]
	v_add_f64 v[23:24], v[27:28], -v[29:30]
	v_add_f64 v[27:28], v[33:34], -v[25:26]
	;; [unrolled: 1-line block ×10, first 2 shown]
	s_barrier
	ds_write_b128 v2, v[3:6]
	ds_write_b128 v2, v[7:10] offset:272
	ds_write_b128 v2, v[11:14] offset:544
	;; [unrolled: 1-line block ×9, first 2 shown]
	s_waitcnt lgkmcnt(0)
	s_barrier
	ds_read_b128 v[0:3], v255 offset:2720
	ds_read_b128 v[4:7], v255
	ds_read_b128 v[8:11], v255 offset:5440
	ds_read_b128 v[12:15], v255 offset:8160
	;; [unrolled: 1-line block ×4, first 2 shown]
	s_waitcnt lgkmcnt(5)
	v_mul_f64 v[40:41], v[82:83], v[2:3]
	v_mul_f64 v[42:43], v[82:83], v[0:1]
	ds_read_b128 v[24:27], v255 offset:16320
	ds_read_b128 v[28:31], v255 offset:19040
	s_waitcnt lgkmcnt(5)
	v_mul_f64 v[44:45], v[74:75], v[10:11]
	s_waitcnt lgkmcnt(3)
	v_mul_f64 v[46:47], v[66:67], v[18:19]
	v_mul_f64 v[48:49], v[70:71], v[12:13]
	ds_read_b128 v[32:35], v255 offset:21760
	ds_read_b128 v[36:39], v255 offset:24480
	v_mul_f64 v[50:51], v[66:67], v[16:17]
	v_fma_f64 v[0:1], v[80:81], v[0:1], v[40:41]
	v_mul_f64 v[40:41], v[74:75], v[8:9]
	v_fma_f64 v[2:3], v[80:81], v[2:3], -v[42:43]
	s_waitcnt lgkmcnt(3)
	v_mul_f64 v[42:43], v[78:79], v[26:27]
	v_fma_f64 v[8:9], v[72:73], v[8:9], v[44:45]
	v_mul_f64 v[44:45], v[70:71], v[14:15]
	v_fma_f64 v[16:17], v[64:65], v[16:17], v[46:47]
	s_waitcnt lgkmcnt(1)
	v_mul_f64 v[46:47], v[86:87], v[32:33]
	v_fma_f64 v[14:15], v[68:69], v[14:15], -v[48:49]
	v_fma_f64 v[10:11], v[72:73], v[10:11], -v[40:41]
	v_mul_f64 v[40:41], v[94:95], v[22:23]
	v_fma_f64 v[42:43], v[76:77], v[24:25], v[42:43]
	v_mul_f64 v[48:49], v[86:87], v[34:35]
	v_fma_f64 v[12:13], v[68:69], v[12:13], v[44:45]
	v_mul_f64 v[44:45], v[94:95], v[20:21]
	v_fma_f64 v[34:35], v[84:85], v[34:35], -v[46:47]
	v_mul_f64 v[24:25], v[78:79], v[24:25]
	v_mul_f64 v[46:47], v[90:91], v[30:31]
	v_fma_f64 v[20:21], v[92:93], v[20:21], v[40:41]
	v_add_f64 v[40:41], v[16:17], v[42:43]
	v_fma_f64 v[32:33], v[84:85], v[32:33], v[48:49]
	v_fma_f64 v[18:19], v[64:65], v[18:19], -v[50:51]
	v_mul_f64 v[50:51], v[90:91], v[28:29]
	v_fma_f64 v[22:23], v[92:93], v[22:23], -v[44:45]
	v_add_f64 v[44:45], v[4:5], v[8:9]
	v_add_f64 v[48:49], v[10:11], -v[34:35]
	v_fma_f64 v[24:25], v[76:77], v[26:27], -v[24:25]
	v_fma_f64 v[40:41], v[40:41], -0.5, v[4:5]
	v_fma_f64 v[26:27], v[88:89], v[28:29], v[46:47]
	v_add_f64 v[46:47], v[8:9], v[32:33]
	v_fma_f64 v[28:29], v[88:89], v[30:31], -v[50:51]
	s_waitcnt lgkmcnt(0)
	v_mul_f64 v[30:31], v[98:99], v[38:39]
	v_mul_f64 v[50:51], v[98:99], v[36:37]
	v_add_f64 v[44:45], v[44:45], v[16:17]
	v_add_f64 v[54:55], v[18:19], -v[24:25]
	v_fma_f64 v[52:53], v[48:49], s[2:3], v[40:41]
	v_add_f64 v[56:57], v[8:9], -v[16:17]
	v_add_f64 v[58:59], v[32:33], -v[42:43]
	v_fma_f64 v[4:5], v[46:47], -0.5, v[4:5]
	v_fma_f64 v[40:41], v[48:49], s[8:9], v[40:41]
	v_fma_f64 v[30:31], v[96:97], v[36:37], v[30:31]
	v_fma_f64 v[36:37], v[96:97], v[38:39], -v[50:51]
	v_add_f64 v[38:39], v[44:45], v[42:43]
	v_add_f64 v[44:45], v[18:19], v[24:25]
	v_fma_f64 v[46:47], v[54:55], s[16:17], v[52:53]
	v_add_f64 v[50:51], v[56:57], v[58:59]
	v_fma_f64 v[52:53], v[54:55], s[8:9], v[4:5]
	;; [unrolled: 2-line block ×3, first 2 shown]
	v_add_f64 v[56:57], v[16:17], -v[8:9]
	v_add_f64 v[58:59], v[42:43], -v[32:33]
	v_fma_f64 v[44:45], v[44:45], -0.5, v[6:7]
	v_add_f64 v[8:9], v[8:9], -v[32:33]
	v_add_f64 v[32:33], v[38:39], v[32:33]
	v_fma_f64 v[38:39], v[50:51], s[18:19], v[46:47]
	v_fma_f64 v[46:47], v[48:49], s[16:17], v[52:53]
	;; [unrolled: 1-line block ×3, first 2 shown]
	v_add_f64 v[52:53], v[60:61], v[18:19]
	v_fma_f64 v[40:41], v[50:51], s[18:19], v[40:41]
	v_add_f64 v[50:51], v[56:57], v[58:59]
	v_fma_f64 v[54:55], v[8:9], s[8:9], v[44:45]
	v_add_f64 v[16:17], v[16:17], -v[42:43]
	v_add_f64 v[42:43], v[10:11], -v[18:19]
	;; [unrolled: 1-line block ×3, first 2 shown]
	v_fma_f64 v[44:45], v[8:9], s[2:3], v[44:45]
	v_add_f64 v[58:59], v[10:11], v[34:35]
	v_fma_f64 v[4:5], v[48:49], s[10:11], v[4:5]
	v_add_f64 v[48:49], v[52:53], v[24:25]
	v_add_f64 v[52:53], v[20:21], v[26:27]
	v_fma_f64 v[46:47], v[50:51], s[18:19], v[46:47]
	v_fma_f64 v[54:55], v[16:17], s[10:11], v[54:55]
	v_add_f64 v[42:43], v[42:43], v[56:57]
	v_fma_f64 v[44:45], v[16:17], s[16:17], v[44:45]
	v_fma_f64 v[6:7], v[58:59], -0.5, v[6:7]
	v_fma_f64 v[50:51], v[50:51], s[18:19], v[4:5]
	v_add_f64 v[48:49], v[48:49], v[34:35]
	v_add_f64 v[4:5], v[0:1], v[12:13]
	v_fma_f64 v[52:53], v[52:53], -0.5, v[0:1]
	v_add_f64 v[56:57], v[14:15], -v[36:37]
	v_add_f64 v[10:11], v[18:19], -v[10:11]
	;; [unrolled: 1-line block ×3, first 2 shown]
	v_add_f64 v[34:35], v[12:13], v[30:31]
	v_fma_f64 v[54:55], v[42:43], s[18:19], v[54:55]
	v_fma_f64 v[42:43], v[42:43], s[18:19], v[44:45]
	;; [unrolled: 1-line block ×4, first 2 shown]
	v_add_f64 v[4:5], v[4:5], v[20:21]
	v_fma_f64 v[16:17], v[56:57], s[2:3], v[52:53]
	v_add_f64 v[24:25], v[22:23], -v[28:29]
	v_add_f64 v[58:59], v[12:13], -v[20:21]
	;; [unrolled: 1-line block ×3, first 2 shown]
	v_add_f64 v[62:63], v[22:23], v[28:29]
	v_fma_f64 v[0:1], v[34:35], -0.5, v[0:1]
	v_fma_f64 v[44:45], v[8:9], s[10:11], v[44:45]
	v_add_f64 v[10:11], v[10:11], v[18:19]
	v_fma_f64 v[6:7], v[8:9], s[16:17], v[6:7]
	v_add_f64 v[4:5], v[4:5], v[26:27]
	v_fma_f64 v[8:9], v[24:25], s[16:17], v[16:17]
	v_add_f64 v[16:17], v[58:59], v[60:61]
	v_fma_f64 v[18:19], v[62:63], -0.5, v[2:3]
	v_add_f64 v[34:35], v[12:13], -v[30:31]
	v_add_f64 v[58:59], v[14:15], v[36:37]
	v_fma_f64 v[60:61], v[24:25], s[8:9], v[0:1]
	v_fma_f64 v[44:45], v[10:11], s[18:19], v[44:45]
	;; [unrolled: 1-line block ×3, first 2 shown]
	v_add_f64 v[64:65], v[4:5], v[30:31]
	v_fma_f64 v[6:7], v[16:17], s[18:19], v[8:9]
	v_add_f64 v[8:9], v[20:21], -v[26:27]
	v_fma_f64 v[4:5], v[34:35], s[8:9], v[18:19]
	v_fma_f64 v[10:11], v[58:59], -0.5, v[2:3]
	v_fma_f64 v[58:59], v[56:57], s[16:17], v[60:61]
	v_add_f64 v[12:13], v[20:21], -v[12:13]
	v_add_f64 v[20:21], v[14:15], -v[22:23]
	;; [unrolled: 1-line block ×3, first 2 shown]
	v_add_f64 v[2:3], v[2:3], v[14:15]
	v_add_f64 v[14:15], v[22:23], -v[14:15]
	v_fma_f64 v[4:5], v[8:9], s[10:11], v[4:5]
	v_fma_f64 v[66:67], v[8:9], s[2:3], v[10:11]
	v_add_f64 v[68:69], v[28:29], -v[36:37]
	v_fma_f64 v[10:11], v[8:9], s[8:9], v[10:11]
	v_fma_f64 v[18:19], v[34:35], s[2:3], v[18:19]
	v_add_f64 v[20:21], v[20:21], v[60:61]
	v_add_f64 v[2:3], v[2:3], v[22:23]
	v_add_f64 v[26:27], v[26:27], -v[30:31]
	v_fma_f64 v[0:1], v[24:25], s[2:3], v[0:1]
	v_fma_f64 v[22:23], v[34:35], s[10:11], v[66:67]
	v_add_f64 v[14:15], v[14:15], v[68:69]
	v_fma_f64 v[10:11], v[34:35], s[16:17], v[10:11]
	v_fma_f64 v[52:53], v[56:57], s[8:9], v[52:53]
	;; [unrolled: 1-line block ×4, first 2 shown]
	v_add_f64 v[12:13], v[12:13], v[26:27]
	v_add_f64 v[2:3], v[2:3], v[28:29]
	v_fma_f64 v[0:1], v[56:57], s[10:11], v[0:1]
	v_fma_f64 v[18:19], v[14:15], s[18:19], v[22:23]
	;; [unrolled: 1-line block ×4, first 2 shown]
	v_mul_f64 v[14:15], v[4:5], s[16:17]
	v_fma_f64 v[8:9], v[20:21], s[18:19], v[8:9]
	v_fma_f64 v[20:21], v[12:13], s[18:19], v[58:59]
	v_add_f64 v[22:23], v[2:3], v[36:37]
	v_fma_f64 v[12:13], v[12:13], s[18:19], v[0:1]
	v_mul_f64 v[2:3], v[18:19], s[2:3]
	v_mul_f64 v[18:19], v[18:19], s[18:19]
	;; [unrolled: 1-line block ×3, first 2 shown]
	v_fma_f64 v[28:29], v[6:7], s[22:23], v[14:15]
	v_mul_f64 v[14:15], v[4:5], s[22:23]
	v_mul_f64 v[10:11], v[10:11], s[20:21]
	v_fma_f64 v[16:17], v[16:17], s[18:19], v[52:53]
	v_mul_f64 v[26:27], v[8:9], s[16:17]
	v_mul_f64 v[8:9], v[8:9], s[24:25]
	v_fma_f64 v[30:31], v[20:21], s[18:19], v[2:3]
	v_fma_f64 v[56:57], v[20:21], s[8:9], v[18:19]
	;; [unrolled: 1-line block ×5, first 2 shown]
	v_add_f64 v[0:1], v[32:33], v[64:65]
	v_fma_f64 v[26:27], v[16:17], s[24:25], v[26:27]
	v_fma_f64 v[60:61], v[16:17], s[10:11], v[8:9]
	v_add_f64 v[2:3], v[48:49], v[22:23]
	v_add_f64 v[4:5], v[38:39], v[28:29]
	;; [unrolled: 1-line block ×9, first 2 shown]
	v_add_f64 v[20:21], v[32:33], -v[64:65]
	v_add_f64 v[22:23], v[48:49], -v[22:23]
	;; [unrolled: 1-line block ×10, first 2 shown]
	ds_write_b128 v255, v[0:3]
	ds_write_b128 v255, v[4:7] offset:2720
	ds_write_b128 v255, v[8:11] offset:5440
	;; [unrolled: 1-line block ×9, first 2 shown]
	s_waitcnt lgkmcnt(0)
	s_barrier
	s_and_b64 exec, exec, s[0:1]
	s_cbranch_execz .LBB0_15
; %bb.14:
	global_load_dwordx4 v[0:3], v255, s[12:13]
	buffer_load_dword v22, off, s[64:67], 0 ; 4-byte Folded Reload
	buffer_load_dword v23, off, s[64:67], 0 offset:4 ; 4-byte Folded Reload
	ds_read_b128 v[4:7], v255
	v_mad_u64_u32 v[14:15], s[0:1], s4, v178, 0
	ds_read_b128 v[8:11], v255 offset:1600
	ds_read_b128 v[16:19], v255 offset:25600
	s_mul_i32 s3, s5, 0x640
	s_mul_i32 s2, s4, 0x640
	s_waitcnt vmcnt(2) lgkmcnt(2)
	v_mul_f64 v[20:21], v[6:7], v[2:3]
	v_mul_f64 v[2:3], v[4:5], v[2:3]
	s_waitcnt vmcnt(1)
	v_mad_u64_u32 v[12:13], s[0:1], s6, v22, 0
	s_waitcnt vmcnt(0)
	v_mad_u64_u32 v[22:23], s[0:1], s7, v22, v[13:14]
	v_fma_f64 v[4:5], v[4:5], v[0:1], v[20:21]
	v_fma_f64 v[2:3], v[0:1], v[6:7], -v[2:3]
	s_waitcnt lgkmcnt(0)
	v_mad_u64_u32 v[23:24], s[0:1], s5, v178, v[15:16]
	s_mov_b32 s0, 0xace01346
	s_mov_b32 s1, 0x3f434679
	v_mov_b32_e32 v13, v22
	v_lshlrev_b64 v[6:7], 4, v[12:13]
	v_mul_f64 v[0:1], v[4:5], s[0:1]
	v_mul_f64 v[2:3], v[2:3], s[0:1]
	v_mov_b32_e32 v15, v23
	v_mov_b32_e32 v20, s15
	v_lshlrev_b64 v[12:13], 4, v[14:15]
	v_add_co_u32_e32 v4, vcc, s14, v6
	v_addc_co_u32_e32 v5, vcc, v20, v7, vcc
	v_add_co_u32_e32 v4, vcc, v4, v12
	v_addc_co_u32_e32 v5, vcc, v5, v13, vcc
	global_store_dwordx4 v[4:5], v[0:3], off
	global_load_dwordx4 v[0:3], v255, s[12:13] offset:1600
	s_mul_hi_u32 s5, s4, 0x640
	s_add_i32 s3, s5, s3
	v_add_co_u32_e32 v12, vcc, s2, v4
	v_mov_b32_e32 v20, s13
	s_movk_i32 s4, 0x1000
	s_waitcnt vmcnt(0)
	v_mul_f64 v[6:7], v[10:11], v[2:3]
	v_mul_f64 v[2:3], v[8:9], v[2:3]
	v_fma_f64 v[6:7], v[8:9], v[0:1], v[6:7]
	v_fma_f64 v[2:3], v[0:1], v[10:11], -v[2:3]
	v_mul_f64 v[0:1], v[6:7], s[0:1]
	v_mul_f64 v[2:3], v[2:3], s[0:1]
	v_mov_b32_e32 v6, s3
	v_addc_co_u32_e32 v13, vcc, v5, v6, vcc
	v_add_co_u32_e32 v22, vcc, s12, v255
	v_addc_co_u32_e32 v23, vcc, 0, v20, vcc
	global_store_dwordx4 v[12:13], v[0:3], off
	global_load_dwordx4 v[0:3], v255, s[12:13] offset:3200
	ds_read_b128 v[4:7], v255 offset:3200
	ds_read_b128 v[8:11], v255 offset:4800
	s_waitcnt vmcnt(0) lgkmcnt(1)
	v_mul_f64 v[14:15], v[6:7], v[2:3]
	v_mul_f64 v[2:3], v[4:5], v[2:3]
	v_fma_f64 v[4:5], v[4:5], v[0:1], v[14:15]
	v_fma_f64 v[2:3], v[0:1], v[6:7], -v[2:3]
	v_add_co_u32_e32 v14, vcc, s4, v22
	v_addc_co_u32_e32 v15, vcc, 0, v23, vcc
	v_mov_b32_e32 v6, s3
	s_movk_i32 s4, 0x2000
	v_mul_f64 v[0:1], v[4:5], s[0:1]
	v_mul_f64 v[2:3], v[2:3], s[0:1]
	v_add_co_u32_e32 v4, vcc, s2, v12
	v_addc_co_u32_e32 v5, vcc, v13, v6, vcc
	v_add_co_u32_e32 v12, vcc, s2, v4
	global_store_dwordx4 v[4:5], v[0:3], off
	global_load_dwordx4 v[0:3], v[14:15], off offset:704
	s_waitcnt vmcnt(0) lgkmcnt(0)
	v_mul_f64 v[6:7], v[10:11], v[2:3]
	v_mul_f64 v[2:3], v[8:9], v[2:3]
	v_fma_f64 v[6:7], v[8:9], v[0:1], v[6:7]
	v_fma_f64 v[2:3], v[0:1], v[10:11], -v[2:3]
	v_mul_f64 v[0:1], v[6:7], s[0:1]
	v_mul_f64 v[2:3], v[2:3], s[0:1]
	v_mov_b32_e32 v6, s3
	v_addc_co_u32_e32 v13, vcc, v5, v6, vcc
	global_store_dwordx4 v[12:13], v[0:3], off
	global_load_dwordx4 v[0:3], v[14:15], off offset:2304
	ds_read_b128 v[4:7], v255 offset:6400
	ds_read_b128 v[8:11], v255 offset:8000
	s_waitcnt vmcnt(0) lgkmcnt(1)
	v_mul_f64 v[20:21], v[6:7], v[2:3]
	v_mul_f64 v[2:3], v[4:5], v[2:3]
	v_fma_f64 v[4:5], v[4:5], v[0:1], v[20:21]
	v_fma_f64 v[2:3], v[0:1], v[6:7], -v[2:3]
	v_mul_f64 v[0:1], v[4:5], s[0:1]
	v_mul_f64 v[2:3], v[2:3], s[0:1]
	v_mov_b32_e32 v5, s3
	v_add_co_u32_e32 v4, vcc, s2, v12
	v_addc_co_u32_e32 v5, vcc, v13, v5, vcc
	v_add_co_u32_e32 v12, vcc, s4, v22
	global_store_dwordx4 v[4:5], v[0:3], off
	global_load_dwordx4 v[0:3], v[14:15], off offset:3904
	v_addc_co_u32_e32 v13, vcc, 0, v23, vcc
	v_add_co_u32_e32 v14, vcc, s2, v4
	s_movk_i32 s4, 0x3000
	s_waitcnt vmcnt(0) lgkmcnt(0)
	v_mul_f64 v[6:7], v[10:11], v[2:3]
	v_mul_f64 v[2:3], v[8:9], v[2:3]
	v_fma_f64 v[6:7], v[8:9], v[0:1], v[6:7]
	v_fma_f64 v[2:3], v[0:1], v[10:11], -v[2:3]
	v_mov_b32_e32 v8, s3
	v_addc_co_u32_e32 v15, vcc, v5, v8, vcc
	v_mul_f64 v[0:1], v[6:7], s[0:1]
	v_mul_f64 v[2:3], v[2:3], s[0:1]
	global_store_dwordx4 v[14:15], v[0:3], off
	global_load_dwordx4 v[0:3], v[12:13], off offset:1408
	ds_read_b128 v[4:7], v255 offset:9600
	ds_read_b128 v[8:11], v255 offset:11200
	s_waitcnt vmcnt(0) lgkmcnt(1)
	v_mul_f64 v[20:21], v[6:7], v[2:3]
	v_mul_f64 v[2:3], v[4:5], v[2:3]
	v_fma_f64 v[4:5], v[4:5], v[0:1], v[20:21]
	v_fma_f64 v[2:3], v[0:1], v[6:7], -v[2:3]
	v_mul_f64 v[0:1], v[4:5], s[0:1]
	v_mul_f64 v[2:3], v[2:3], s[0:1]
	v_mov_b32_e32 v5, s3
	v_add_co_u32_e32 v4, vcc, s2, v14
	v_addc_co_u32_e32 v5, vcc, v15, v5, vcc
	global_store_dwordx4 v[4:5], v[0:3], off
	global_load_dwordx4 v[0:3], v[12:13], off offset:3008
	v_add_co_u32_e32 v12, vcc, s4, v22
	v_addc_co_u32_e32 v13, vcc, 0, v23, vcc
	v_add_co_u32_e32 v14, vcc, s2, v4
	s_movk_i32 s4, 0x4000
	s_waitcnt vmcnt(0) lgkmcnt(0)
	v_mul_f64 v[6:7], v[10:11], v[2:3]
	v_mul_f64 v[2:3], v[8:9], v[2:3]
	v_fma_f64 v[6:7], v[8:9], v[0:1], v[6:7]
	v_fma_f64 v[2:3], v[0:1], v[10:11], -v[2:3]
	v_mov_b32_e32 v8, s3
	v_addc_co_u32_e32 v15, vcc, v5, v8, vcc
	v_mul_f64 v[0:1], v[6:7], s[0:1]
	v_mul_f64 v[2:3], v[2:3], s[0:1]
	global_store_dwordx4 v[14:15], v[0:3], off
	global_load_dwordx4 v[0:3], v[12:13], off offset:512
	ds_read_b128 v[4:7], v255 offset:12800
	ds_read_b128 v[8:11], v255 offset:14400
	s_waitcnt vmcnt(0) lgkmcnt(1)
	v_mul_f64 v[20:21], v[6:7], v[2:3]
	v_mul_f64 v[2:3], v[4:5], v[2:3]
	v_fma_f64 v[4:5], v[4:5], v[0:1], v[20:21]
	v_fma_f64 v[2:3], v[0:1], v[6:7], -v[2:3]
	v_mul_f64 v[0:1], v[4:5], s[0:1]
	v_mul_f64 v[2:3], v[2:3], s[0:1]
	v_mov_b32_e32 v5, s3
	v_add_co_u32_e32 v4, vcc, s2, v14
	v_addc_co_u32_e32 v5, vcc, v15, v5, vcc
	v_add_co_u32_e32 v14, vcc, s2, v4
	global_store_dwordx4 v[4:5], v[0:3], off
	global_load_dwordx4 v[0:3], v[12:13], off offset:2112
	s_waitcnt vmcnt(0) lgkmcnt(0)
	v_mul_f64 v[6:7], v[10:11], v[2:3]
	v_mul_f64 v[2:3], v[8:9], v[2:3]
	v_fma_f64 v[6:7], v[8:9], v[0:1], v[6:7]
	v_fma_f64 v[2:3], v[0:1], v[10:11], -v[2:3]
	v_mul_f64 v[0:1], v[6:7], s[0:1]
	v_mul_f64 v[2:3], v[2:3], s[0:1]
	v_mov_b32_e32 v6, s3
	v_addc_co_u32_e32 v15, vcc, v5, v6, vcc
	global_store_dwordx4 v[14:15], v[0:3], off
	global_load_dwordx4 v[0:3], v[12:13], off offset:3712
	ds_read_b128 v[4:7], v255 offset:16000
	ds_read_b128 v[8:11], v255 offset:17600
	s_waitcnt vmcnt(0) lgkmcnt(1)
	v_mul_f64 v[12:13], v[6:7], v[2:3]
	v_mul_f64 v[2:3], v[4:5], v[2:3]
	v_fma_f64 v[4:5], v[4:5], v[0:1], v[12:13]
	v_fma_f64 v[2:3], v[0:1], v[6:7], -v[2:3]
	v_mov_b32_e32 v7, s3
	v_mul_f64 v[0:1], v[4:5], s[0:1]
	v_mul_f64 v[2:3], v[2:3], s[0:1]
	v_add_co_u32_e32 v4, vcc, s4, v22
	v_addc_co_u32_e32 v5, vcc, 0, v23, vcc
	v_add_co_u32_e32 v6, vcc, s2, v14
	v_addc_co_u32_e32 v7, vcc, v15, v7, vcc
	global_store_dwordx4 v[6:7], v[0:3], off
	global_load_dwordx4 v[0:3], v[4:5], off offset:1216
	s_movk_i32 s4, 0x5000
	s_waitcnt vmcnt(0) lgkmcnt(0)
	v_mul_f64 v[12:13], v[10:11], v[2:3]
	v_mul_f64 v[2:3], v[8:9], v[2:3]
	v_fma_f64 v[8:9], v[8:9], v[0:1], v[12:13]
	v_fma_f64 v[2:3], v[0:1], v[10:11], -v[2:3]
	v_add_co_u32_e32 v12, vcc, s2, v6
	v_mul_f64 v[0:1], v[8:9], s[0:1]
	v_mul_f64 v[2:3], v[2:3], s[0:1]
	v_mov_b32_e32 v8, s3
	v_addc_co_u32_e32 v13, vcc, v7, v8, vcc
	global_store_dwordx4 v[12:13], v[0:3], off
	global_load_dwordx4 v[0:3], v[4:5], off offset:2816
	ds_read_b128 v[4:7], v255 offset:19200
	ds_read_b128 v[8:11], v255 offset:20800
	s_waitcnt vmcnt(0) lgkmcnt(1)
	v_mul_f64 v[14:15], v[6:7], v[2:3]
	v_mul_f64 v[2:3], v[4:5], v[2:3]
	v_fma_f64 v[4:5], v[4:5], v[0:1], v[14:15]
	v_fma_f64 v[2:3], v[0:1], v[6:7], -v[2:3]
	v_add_co_u32_e32 v14, vcc, s4, v22
	v_addc_co_u32_e32 v15, vcc, 0, v23, vcc
	v_mov_b32_e32 v6, s3
	s_movk_i32 s4, 0x6000
	v_mul_f64 v[0:1], v[4:5], s[0:1]
	v_mul_f64 v[2:3], v[2:3], s[0:1]
	v_add_co_u32_e32 v4, vcc, s2, v12
	v_addc_co_u32_e32 v5, vcc, v13, v6, vcc
	v_add_co_u32_e32 v12, vcc, s2, v4
	global_store_dwordx4 v[4:5], v[0:3], off
	global_load_dwordx4 v[0:3], v[14:15], off offset:320
	s_waitcnt vmcnt(0) lgkmcnt(0)
	v_mul_f64 v[6:7], v[10:11], v[2:3]
	v_mul_f64 v[2:3], v[8:9], v[2:3]
	v_fma_f64 v[6:7], v[8:9], v[0:1], v[6:7]
	v_fma_f64 v[2:3], v[0:1], v[10:11], -v[2:3]
	v_mul_f64 v[0:1], v[6:7], s[0:1]
	v_mul_f64 v[2:3], v[2:3], s[0:1]
	v_mov_b32_e32 v6, s3
	v_addc_co_u32_e32 v13, vcc, v5, v6, vcc
	global_store_dwordx4 v[12:13], v[0:3], off
	global_load_dwordx4 v[0:3], v[14:15], off offset:1920
	ds_read_b128 v[4:7], v255 offset:22400
	ds_read_b128 v[8:11], v255 offset:24000
	s_waitcnt vmcnt(0) lgkmcnt(1)
	v_mul_f64 v[20:21], v[6:7], v[2:3]
	v_mul_f64 v[2:3], v[4:5], v[2:3]
	v_fma_f64 v[4:5], v[4:5], v[0:1], v[20:21]
	v_fma_f64 v[2:3], v[0:1], v[6:7], -v[2:3]
	v_mul_f64 v[0:1], v[4:5], s[0:1]
	v_mul_f64 v[2:3], v[2:3], s[0:1]
	v_mov_b32_e32 v5, s3
	v_add_co_u32_e32 v4, vcc, s2, v12
	v_addc_co_u32_e32 v5, vcc, v13, v5, vcc
	global_store_dwordx4 v[4:5], v[0:3], off
	global_load_dwordx4 v[0:3], v[14:15], off offset:3520
	s_waitcnt vmcnt(0) lgkmcnt(0)
	v_mul_f64 v[6:7], v[10:11], v[2:3]
	v_mul_f64 v[2:3], v[8:9], v[2:3]
	v_fma_f64 v[6:7], v[8:9], v[0:1], v[6:7]
	v_fma_f64 v[2:3], v[0:1], v[10:11], -v[2:3]
	v_mov_b32_e32 v8, s3
	v_mul_f64 v[0:1], v[6:7], s[0:1]
	v_mul_f64 v[2:3], v[2:3], s[0:1]
	v_add_co_u32_e32 v6, vcc, s4, v22
	v_addc_co_u32_e32 v7, vcc, 0, v23, vcc
	v_add_co_u32_e32 v4, vcc, s2, v4
	v_addc_co_u32_e32 v5, vcc, v5, v8, vcc
	global_store_dwordx4 v[4:5], v[0:3], off
	global_load_dwordx4 v[0:3], v[6:7], off offset:1024
	v_add_co_u32_e32 v4, vcc, s2, v4
	s_waitcnt vmcnt(0)
	v_mul_f64 v[6:7], v[18:19], v[2:3]
	v_mul_f64 v[2:3], v[16:17], v[2:3]
	v_fma_f64 v[6:7], v[16:17], v[0:1], v[6:7]
	v_fma_f64 v[2:3], v[0:1], v[18:19], -v[2:3]
	v_mul_f64 v[0:1], v[6:7], s[0:1]
	v_mul_f64 v[2:3], v[2:3], s[0:1]
	v_mov_b32_e32 v6, s3
	v_addc_co_u32_e32 v5, vcc, v5, v6, vcc
	global_store_dwordx4 v[4:5], v[0:3], off
.LBB0_15:
	s_endpgm
	.section	.rodata,"a",@progbits
	.p2align	6, 0x0
	.amdhsa_kernel bluestein_single_back_len1700_dim1_dp_op_CI_CI
		.amdhsa_group_segment_fixed_size 27200
		.amdhsa_private_segment_fixed_size 688
		.amdhsa_kernarg_size 104
		.amdhsa_user_sgpr_count 6
		.amdhsa_user_sgpr_private_segment_buffer 1
		.amdhsa_user_sgpr_dispatch_ptr 0
		.amdhsa_user_sgpr_queue_ptr 0
		.amdhsa_user_sgpr_kernarg_segment_ptr 1
		.amdhsa_user_sgpr_dispatch_id 0
		.amdhsa_user_sgpr_flat_scratch_init 0
		.amdhsa_user_sgpr_private_segment_size 0
		.amdhsa_uses_dynamic_stack 0
		.amdhsa_system_sgpr_private_segment_wavefront_offset 1
		.amdhsa_system_sgpr_workgroup_id_x 1
		.amdhsa_system_sgpr_workgroup_id_y 0
		.amdhsa_system_sgpr_workgroup_id_z 0
		.amdhsa_system_sgpr_workgroup_info 0
		.amdhsa_system_vgpr_workitem_id 0
		.amdhsa_next_free_vgpr 256
		.amdhsa_next_free_sgpr 68
		.amdhsa_reserve_vcc 1
		.amdhsa_reserve_flat_scratch 0
		.amdhsa_float_round_mode_32 0
		.amdhsa_float_round_mode_16_64 0
		.amdhsa_float_denorm_mode_32 3
		.amdhsa_float_denorm_mode_16_64 3
		.amdhsa_dx10_clamp 1
		.amdhsa_ieee_mode 1
		.amdhsa_fp16_overflow 0
		.amdhsa_exception_fp_ieee_invalid_op 0
		.amdhsa_exception_fp_denorm_src 0
		.amdhsa_exception_fp_ieee_div_zero 0
		.amdhsa_exception_fp_ieee_overflow 0
		.amdhsa_exception_fp_ieee_underflow 0
		.amdhsa_exception_fp_ieee_inexact 0
		.amdhsa_exception_int_div_zero 0
	.end_amdhsa_kernel
	.text
.Lfunc_end0:
	.size	bluestein_single_back_len1700_dim1_dp_op_CI_CI, .Lfunc_end0-bluestein_single_back_len1700_dim1_dp_op_CI_CI
                                        ; -- End function
	.section	.AMDGPU.csdata,"",@progbits
; Kernel info:
; codeLenInByte = 29524
; NumSgprs: 72
; NumVgprs: 256
; ScratchSize: 688
; MemoryBound: 0
; FloatMode: 240
; IeeeMode: 1
; LDSByteSize: 27200 bytes/workgroup (compile time only)
; SGPRBlocks: 8
; VGPRBlocks: 63
; NumSGPRsForWavesPerEU: 72
; NumVGPRsForWavesPerEU: 256
; Occupancy: 1
; WaveLimiterHint : 1
; COMPUTE_PGM_RSRC2:SCRATCH_EN: 1
; COMPUTE_PGM_RSRC2:USER_SGPR: 6
; COMPUTE_PGM_RSRC2:TRAP_HANDLER: 0
; COMPUTE_PGM_RSRC2:TGID_X_EN: 1
; COMPUTE_PGM_RSRC2:TGID_Y_EN: 0
; COMPUTE_PGM_RSRC2:TGID_Z_EN: 0
; COMPUTE_PGM_RSRC2:TIDIG_COMP_CNT: 0
	.type	__hip_cuid_96a19a7db54c4914,@object ; @__hip_cuid_96a19a7db54c4914
	.section	.bss,"aw",@nobits
	.globl	__hip_cuid_96a19a7db54c4914
__hip_cuid_96a19a7db54c4914:
	.byte	0                               ; 0x0
	.size	__hip_cuid_96a19a7db54c4914, 1

	.ident	"AMD clang version 19.0.0git (https://github.com/RadeonOpenCompute/llvm-project roc-6.4.0 25133 c7fe45cf4b819c5991fe208aaa96edf142730f1d)"
	.section	".note.GNU-stack","",@progbits
	.addrsig
	.addrsig_sym __hip_cuid_96a19a7db54c4914
	.amdgpu_metadata
---
amdhsa.kernels:
  - .args:
      - .actual_access:  read_only
        .address_space:  global
        .offset:         0
        .size:           8
        .value_kind:     global_buffer
      - .actual_access:  read_only
        .address_space:  global
        .offset:         8
        .size:           8
        .value_kind:     global_buffer
      - .actual_access:  read_only
        .address_space:  global
        .offset:         16
        .size:           8
        .value_kind:     global_buffer
      - .actual_access:  read_only
        .address_space:  global
        .offset:         24
        .size:           8
        .value_kind:     global_buffer
      - .actual_access:  read_only
        .address_space:  global
        .offset:         32
        .size:           8
        .value_kind:     global_buffer
      - .offset:         40
        .size:           8
        .value_kind:     by_value
      - .address_space:  global
        .offset:         48
        .size:           8
        .value_kind:     global_buffer
      - .address_space:  global
        .offset:         56
        .size:           8
        .value_kind:     global_buffer
      - .address_space:  global
        .offset:         64
        .size:           8
        .value_kind:     global_buffer
      - .address_space:  global
        .offset:         72
        .size:           8
        .value_kind:     global_buffer
      - .offset:         80
        .size:           4
        .value_kind:     by_value
      - .address_space:  global
        .offset:         88
        .size:           8
        .value_kind:     global_buffer
      - .address_space:  global
        .offset:         96
        .size:           8
        .value_kind:     global_buffer
    .group_segment_fixed_size: 27200
    .kernarg_segment_align: 8
    .kernarg_segment_size: 104
    .language:       OpenCL C
    .language_version:
      - 2
      - 0
    .max_flat_workgroup_size: 170
    .name:           bluestein_single_back_len1700_dim1_dp_op_CI_CI
    .private_segment_fixed_size: 688
    .sgpr_count:     72
    .sgpr_spill_count: 0
    .symbol:         bluestein_single_back_len1700_dim1_dp_op_CI_CI.kd
    .uniform_work_group_size: 1
    .uses_dynamic_stack: false
    .vgpr_count:     256
    .vgpr_spill_count: 223
    .wavefront_size: 64
amdhsa.target:   amdgcn-amd-amdhsa--gfx906
amdhsa.version:
  - 1
  - 2
...

	.end_amdgpu_metadata
